;; amdgpu-corpus repo=ROCm/rocFFT kind=compiled arch=gfx1030 opt=O3
	.text
	.amdgcn_target "amdgcn-amd-amdhsa--gfx1030"
	.amdhsa_code_object_version 6
	.protected	bluestein_single_back_len204_dim1_dp_op_CI_CI ; -- Begin function bluestein_single_back_len204_dim1_dp_op_CI_CI
	.globl	bluestein_single_back_len204_dim1_dp_op_CI_CI
	.p2align	8
	.type	bluestein_single_back_len204_dim1_dp_op_CI_CI,@function
bluestein_single_back_len204_dim1_dp_op_CI_CI: ; @bluestein_single_back_len204_dim1_dp_op_CI_CI
; %bb.0:
	s_mov_b64 s[62:63], s[2:3]
	s_mov_b64 s[60:61], s[0:1]
	s_load_dwordx4 s[0:3], s[4:5], 0x28
	v_mul_u32_u24_e32 v1, 0xf10, v0
	s_add_u32 s60, s60, s7
	s_addc_u32 s61, s61, 0
	v_lshrrev_b32_e32 v1, 16, v1
	v_mad_u64_u32 v[4:5], null, s6, 7, v[1:2]
	v_mov_b32_e32 v5, 0
	s_waitcnt lgkmcnt(0)
	v_cmp_gt_u64_e32 vcc_lo, s[0:1], v[4:5]
	s_and_saveexec_b32 s0, vcc_lo
	s_cbranch_execz .LBB0_15
; %bb.1:
	v_mul_hi_u32 v2, 0x24924925, v4
	v_mul_lo_u16 v1, v1, 17
	s_clause 0x1
	s_load_dwordx2 s[12:13], s[4:5], 0x0
	s_load_dwordx2 s[14:15], s[4:5], 0x38
	v_sub_nc_u16 v0, v0, v1
	v_mov_b32_e32 v1, v4
	v_sub_nc_u32_e32 v3, v4, v2
	v_cmp_gt_u16_e32 vcc_lo, 12, v0
	v_lshrrev_b32_e32 v3, 1, v3
	v_add_nc_u32_e32 v2, v3, v2
	v_lshrrev_b32_e32 v2, 2, v2
	v_mul_lo_u32 v2, v2, 7
	buffer_store_dword v1, off, s[60:63], 0 offset:12 ; 4-byte Folded Spill
	buffer_store_dword v2, off, s[60:63], 0 offset:16 ; 4-byte Folded Spill
	v_sub_nc_u32_e32 v1, v4, v2
	v_and_b32_e32 v2, 0xffff, v0
	v_mul_u32_u24_e32 v1, 0xcc, v1
	v_or_b32_e32 v0, 48, v2
	v_or_b32_e32 v255, 0xc0, v2
	buffer_store_dword v0, off, s[60:63], 0 offset:44 ; 4-byte Folded Spill
	v_or_b32_e32 v0, 0x60, v2
	buffer_store_dword v0, off, s[60:63], 0 offset:40 ; 4-byte Folded Spill
	;; [unrolled: 2-line block ×3, first 2 shown]
	buffer_store_dword v1, off, s[60:63], 0 offset:4 ; 4-byte Folded Spill
	v_lshlrev_b32_e32 v0, 4, v1
	buffer_store_dword v0, off, s[60:63], 0 offset:8 ; 4-byte Folded Spill
	buffer_store_dword v2, off, s[60:63], 0 ; 4-byte Folded Spill
	s_and_saveexec_b32 s1, vcc_lo
	s_cbranch_execz .LBB0_3
; %bb.2:
	buffer_load_dword v160, off, s[60:63], 0 ; 4-byte Folded Reload
	s_load_dwordx2 s[6:7], s[4:5], 0x18
	v_lshlrev_b32_e32 v74, 4, v255
	s_waitcnt lgkmcnt(0)
	s_load_dwordx4 s[8:11], s[6:7], 0x0
	s_waitcnt lgkmcnt(0)
	v_mad_u64_u32 v[62:63], null, s8, v255, 0
	s_mul_hi_u32 s7, s8, 0xc0
	s_mul_i32 s6, s8, 0xc0
	s_mul_hi_u32 s16, s8, 0x180
	v_mov_b32_e32 v32, v63
	s_waitcnt vmcnt(0)
	v_lshlrev_b32_e32 v159, 4, v160
	v_mad_u64_u32 v[24:25], null, s8, v160, 0
	v_or_b32_e32 v36, 48, v160
	v_or_b32_e32 v37, 0x60, v160
	s_clause 0x4
	global_load_dwordx4 v[0:3], v159, s[12:13]
	global_load_dwordx4 v[4:7], v159, s[12:13] offset:192
	global_load_dwordx4 v[8:11], v159, s[12:13] offset:384
	;; [unrolled: 1-line block ×4, first 2 shown]
	s_clause 0x1
	buffer_load_dword v22, off, s[60:63], 0 offset:12
	buffer_load_dword v23, off, s[60:63], 0 offset:16
	v_or_b32_e32 v68, 0x90, v160
	v_mad_u64_u32 v[26:27], null, s8, v36, 0
	v_mad_u64_u32 v[28:29], null, s8, v37, 0
	;; [unrolled: 1-line block ×3, first 2 shown]
	v_add_co_u32 v16, s0, s12, v159
	v_add_co_ci_u32_e64 v17, null, s13, 0, s0
	s_mul_i32 s0, s9, 0xc0
	s_mulk_i32 s8, 0x180
	s_add_i32 s7, s7, s0
	s_waitcnt vmcnt(1)
	v_mov_b32_e32 v33, v22
	s_waitcnt vmcnt(0)
	v_mad_u64_u32 v[22:23], null, s10, v33, 0
	s_mul_i32 s10, s9, 0x180
	s_add_i32 s16, s16, s10
	v_mad_u64_u32 v[33:34], null, s11, v33, v[23:24]
	v_mad_u64_u32 v[34:35], null, s9, v160, v[25:26]
	;; [unrolled: 1-line block ×4, first 2 shown]
	v_mov_b32_e32 v23, v33
	v_mad_u64_u32 v[37:38], null, s9, v68, v[31:32]
	v_mov_b32_e32 v25, v34
	v_mov_b32_e32 v27, v35
	v_lshlrev_b64 v[22:23], 4, v[22:23]
	v_mov_b32_e32 v29, v36
	v_mad_u64_u32 v[38:39], null, s9, v255, v[32:33]
	v_lshlrev_b64 v[24:25], 4, v[24:25]
	v_mov_b32_e32 v31, v37
	v_add_co_u32 v66, s0, s2, v22
	v_add_co_ci_u32_e64 v67, s0, s3, v23, s0
	v_lshlrev_b64 v[22:23], 4, v[28:29]
	v_add_co_u32 v28, s0, v66, v24
	v_lshlrev_b64 v[26:27], 4, v[26:27]
	v_add_co_ci_u32_e64 v29, s0, v67, v25, s0
	v_lshlrev_b64 v[64:65], 4, v[30:31]
	v_add_co_u32 v30, s0, v28, s6
	v_add_co_ci_u32_e64 v31, s0, s7, v29, s0
	v_add_co_u32 v42, s0, v66, v26
	v_add_co_ci_u32_e64 v43, s0, v67, v27, s0
	;; [unrolled: 2-line block ×4, first 2 shown]
	v_mov_b32_e32 v63, v38
	v_add_co_u32 v38, s0, v34, s6
	v_add_co_ci_u32_e64 v39, s0, s7, v35, s0
	global_load_dwordx4 v[22:25], v[22:23], off
	v_add_co_u32 v46, s0, v38, s8
	v_add_co_ci_u32_e64 v47, s0, s16, v39, s0
	s_clause 0x1
	global_load_dwordx4 v[26:29], v[28:29], off
	global_load_dwordx4 v[30:33], v[30:31], off
	v_add_co_u32 v54, s0, v46, s6
	v_add_co_ci_u32_e64 v55, s0, s7, v47, s0
	s_clause 0x3
	global_load_dwordx4 v[34:37], v[34:35], off
	global_load_dwordx4 v[38:41], v[38:39], off
	;; [unrolled: 1-line block ×5, first 2 shown]
	v_add_co_u32 v86, s0, v54, s6
	v_lshlrev_b64 v[62:63], 4, v[62:63]
	v_add_co_ci_u32_e64 v87, s0, s7, v55, s0
	v_add_co_u32 v64, s0, v66, v64
	v_add_co_ci_u32_e64 v65, s0, v67, v65, s0
	v_add_co_u32 v70, s0, v66, v62
	v_lshlrev_b32_e32 v68, 4, v68
	v_add_co_ci_u32_e64 v71, s0, v67, v63, s0
	v_add_co_u32 v90, s0, v86, s8
	s_clause 0x1
	global_load_dwordx4 v[54:57], v159, s[12:13] offset:1344
	global_load_dwordx4 v[58:61], v159, s[12:13] offset:1536
	v_add_co_ci_u32_e64 v91, s0, s16, v87, s0
	global_load_dwordx4 v[62:65], v[64:65], off
	global_load_dwordx4 v[66:69], v68, s[12:13]
	global_load_dwordx4 v[70:73], v[70:71], off
	s_clause 0x2
	global_load_dwordx4 v[74:77], v74, s[12:13]
	global_load_dwordx4 v[78:81], v159, s[12:13] offset:960
	global_load_dwordx4 v[82:85], v159, s[12:13] offset:1152
	global_load_dwordx4 v[86:89], v[86:87], off
	v_add_co_u32 v94, s0, v90, s6
	v_add_co_ci_u32_e64 v95, s0, s7, v91, s0
	v_add_co_u32 v110, s0, v94, s6
	v_add_co_ci_u32_e64 v111, s0, s7, v95, s0
	v_add_co_u32 v16, s0, 0x800, v16
	v_add_co_ci_u32_e64 v17, s0, 0, v17, s0
	v_add_co_u32 v114, s0, v110, s8
	v_add_co_ci_u32_e64 v115, s0, s16, v111, s0
	global_load_dwordx4 v[90:93], v[90:91], off
	global_load_dwordx4 v[94:97], v[94:95], off
	s_clause 0x1
	global_load_dwordx4 v[98:101], v159, s[12:13] offset:1728
	global_load_dwordx4 v[102:105], v159, s[12:13] offset:1920
	global_load_dwordx4 v[106:109], v[110:111], off
	v_add_co_u32 v122, s0, v114, s6
	v_add_co_ci_u32_e64 v123, s0, s7, v115, s0
	global_load_dwordx4 v[110:113], v[16:17], off offset:64
	v_add_co_u32 v130, s0, v122, s6
	v_add_co_ci_u32_e64 v131, s0, s7, v123, s0
	global_load_dwordx4 v[114:117], v[114:115], off
	global_load_dwordx4 v[118:121], v[16:17], off offset:448
	global_load_dwordx4 v[122:125], v[122:123], off
	s_clause 0x1
	global_load_dwordx4 v[126:129], v[16:17], off offset:640
	global_load_dwordx4 v[133:136], v[16:17], off offset:832
	global_load_dwordx4 v[137:140], v[130:131], off
	s_waitcnt vmcnt(27)
	v_mul_f64 v[16:17], v[28:29], v[2:3]
	v_mul_f64 v[2:3], v[26:27], v[2:3]
	s_waitcnt vmcnt(26)
	v_mul_f64 v[147:148], v[32:33], v[6:7]
	v_mul_f64 v[149:150], v[30:31], v[6:7]
	;; [unrolled: 3-line block ×3, first 2 shown]
	v_mul_f64 v[151:152], v[36:37], v[10:11]
	v_mul_f64 v[10:11], v[34:35], v[10:11]
	;; [unrolled: 1-line block ×4, first 2 shown]
	v_fma_f64 v[14:15], v[26:27], v[0:1], v[16:17]
	v_fma_f64 v[16:17], v[28:29], v[0:1], -v[2:3]
	v_fma_f64 v[26:27], v[30:31], v[4:5], v[147:148]
	v_fma_f64 v[28:29], v[32:33], v[4:5], -v[149:150]
	v_fma_f64 v[0:1], v[42:43], v[18:19], v[130:131]
	s_waitcnt vmcnt(13)
	v_mul_f64 v[42:43], v[52:53], v[84:85]
	s_waitcnt vmcnt(12)
	v_mul_f64 v[4:5], v[88:89], v[56:57]
	v_fma_f64 v[32:33], v[36:37], v[8:9], -v[10:11]
	v_fma_f64 v[10:11], v[38:39], v[12:13], v[153:154]
	v_mul_f64 v[141:142], v[24:25], v[60:61]
	v_mul_f64 v[60:61], v[22:23], v[60:61]
	;; [unrolled: 1-line block ×7, first 2 shown]
	v_fma_f64 v[2:3], v[44:45], v[18:19], -v[20:21]
	v_mul_f64 v[44:45], v[50:51], v[84:85]
	v_mul_f64 v[56:57], v[86:87], v[56:57]
	;; [unrolled: 1-line block ×3, first 2 shown]
	v_fma_f64 v[30:31], v[34:35], v[8:9], v[151:152]
	v_fma_f64 v[12:13], v[40:41], v[12:13], -v[155:156]
	v_fma_f64 v[38:39], v[50:51], v[82:83], v[42:43]
	v_fma_f64 v[42:43], v[86:87], v[54:55], v[4:5]
	buffer_load_dword v5, off, s[60:63], 0 offset:8 ; 4-byte Folded Reload
	v_fma_f64 v[18:19], v[22:23], v[58:59], v[141:142]
	v_fma_f64 v[20:21], v[24:25], v[58:59], -v[60:61]
	s_waitcnt vmcnt(10)
	v_mul_f64 v[58:59], v[92:93], v[100:101]
	v_mul_f64 v[60:61], v[90:91], v[100:101]
	v_fma_f64 v[22:23], v[62:63], v[66:67], v[143:144]
	v_fma_f64 v[24:25], v[64:65], v[66:67], -v[68:69]
	s_waitcnt vmcnt(9)
	v_mul_f64 v[62:63], v[96:97], v[104:105]
	v_mul_f64 v[64:65], v[94:95], v[104:105]
	s_waitcnt vmcnt(7)
	v_mul_f64 v[66:67], v[108:109], v[112:113]
	v_mul_f64 v[68:69], v[106:107], v[112:113]
	v_fma_f64 v[6:7], v[70:71], v[74:75], v[145:146]
	s_waitcnt vmcnt(5)
	v_mul_f64 v[70:71], v[116:117], v[120:121]
	v_mul_f64 v[84:85], v[114:115], v[120:121]
	s_waitcnt vmcnt(3)
	v_mul_f64 v[100:101], v[124:125], v[128:129]
	v_mul_f64 v[104:105], v[122:123], v[128:129]
	;; [unrolled: 3-line block ×3, first 2 shown]
	v_fma_f64 v[34:35], v[46:47], v[78:79], v[157:158]
	v_fma_f64 v[36:37], v[48:49], v[78:79], -v[80:81]
	v_fma_f64 v[40:41], v[52:53], v[82:83], -v[44:45]
	;; [unrolled: 1-line block ×4, first 2 shown]
	v_fma_f64 v[46:47], v[90:91], v[98:99], v[58:59]
	v_fma_f64 v[48:49], v[92:93], v[98:99], -v[60:61]
	v_fma_f64 v[50:51], v[94:95], v[102:103], v[62:63]
	v_fma_f64 v[52:53], v[96:97], v[102:103], -v[64:65]
	;; [unrolled: 2-line block ×6, first 2 shown]
	s_waitcnt vmcnt(0)
	v_lshl_add_u32 v4, v160, 4, v5
	v_add_nc_u32_e32 v5, v5, v159
	ds_write_b128 v4, v[14:17]
	ds_write_b128 v5, v[0:3] offset:768
	ds_write_b128 v5, v[18:21] offset:1536
	;; [unrolled: 1-line block ×16, first 2 shown]
.LBB0_3:
	s_or_b32 exec_lo, exec_lo, s1
	s_clause 0x1
	s_load_dwordx2 s[0:1], s[4:5], 0x20
	s_load_dwordx2 s[2:3], s[4:5], 0x8
	s_waitcnt lgkmcnt(0)
	s_waitcnt_vscnt null, 0x0
	s_barrier
	buffer_gl0_inv
                                        ; implicit-def: $vgpr20_vgpr21
                                        ; implicit-def: $vgpr44_vgpr45
                                        ; implicit-def: $vgpr48_vgpr49
                                        ; implicit-def: $vgpr64_vgpr65
                                        ; implicit-def: $vgpr76_vgpr77
                                        ; implicit-def: $vgpr60_vgpr61
                                        ; implicit-def: $vgpr40_vgpr41
                                        ; implicit-def: $vgpr36_vgpr37
                                        ; implicit-def: $vgpr32_vgpr33
                                        ; implicit-def: $vgpr28_vgpr29
                                        ; implicit-def: $vgpr24_vgpr25
                                        ; implicit-def: $vgpr84_vgpr85
                                        ; implicit-def: $vgpr80_vgpr81
                                        ; implicit-def: $vgpr72_vgpr73
                                        ; implicit-def: $vgpr68_vgpr69
                                        ; implicit-def: $vgpr56_vgpr57
                                        ; implicit-def: $vgpr52_vgpr53
	s_and_saveexec_b32 s4, vcc_lo
	s_cbranch_execz .LBB0_5
; %bb.4:
	s_clause 0x1
	buffer_load_dword v0, off, s[60:63], 0
	buffer_load_dword v1, off, s[60:63], 0 offset:4
	s_waitcnt vmcnt(1)
	v_lshlrev_b32_e32 v0, 4, v0
	s_waitcnt vmcnt(0)
	v_lshl_add_u32 v0, v1, 4, v0
	ds_read_b128 v[20:23], v0
	ds_read_b128 v[52:55], v0 offset:192
	ds_read_b128 v[56:59], v0 offset:384
	;; [unrolled: 1-line block ×16, first 2 shown]
.LBB0_5:
	s_or_b32 exec_lo, exec_lo, s4
	s_waitcnt lgkmcnt(0)
	v_add_f64 v[155:156], v[54:55], -v[26:27]
	s_mov_b32 s10, 0x5d8e7cdc
	s_mov_b32 s11, 0xbfd71e95
	v_add_f64 v[90:91], v[58:59], -v[30:31]
	s_mov_b32 s8, 0x2a9d6da3
	s_mov_b32 s9, 0xbfe58eea
	v_add_f64 v[151:152], v[24:25], v[52:53]
	s_mov_b32 s6, 0x370991
	s_mov_b32 s7, 0x3fedd6d0
	v_add_f64 v[88:89], v[28:29], v[56:57]
	s_mov_b32 s4, 0x75d4884
	s_mov_b32 s5, 0x3fe7a5f6
	v_add_f64 v[169:170], v[52:53], -v[24:25]
	v_add_f64 v[92:93], v[56:57], -v[28:29]
	v_add_f64 v[165:166], v[26:27], v[54:55]
	v_add_f64 v[102:103], v[30:31], v[58:59]
	v_add_f64 v[100:101], v[46:47], -v[34:35]
	s_mov_b32 s18, 0x7c9e640b
	s_mov_b32 s19, 0xbfeca52d
	v_add_f64 v[94:95], v[44:45], v[32:33]
	s_mov_b32 s16, 0x2b2883cd
	s_mov_b32 s17, 0x3fdc86fa
	v_mul_f64 v[0:1], v[155:156], s[10:11]
	v_add_f64 v[96:97], v[44:45], -v[32:33]
	v_add_f64 v[110:111], v[46:47], v[34:35]
	v_mul_f64 v[2:3], v[90:91], s[8:9]
	v_add_f64 v[108:109], v[50:51], -v[38:39]
	s_mov_b32 s22, 0xeb564b22
	s_mov_b32 s23, 0xbfefdd0d
	v_add_f64 v[98:99], v[48:49], v[36:37]
	s_mov_b32 s20, 0x3259b75e
	s_mov_b32 s21, 0x3fb79ee6
	v_add_f64 v[104:105], v[48:49], -v[36:37]
	v_add_f64 v[118:119], v[50:51], v[38:39]
	v_add_f64 v[114:115], v[70:71], -v[42:43]
	v_mul_f64 v[4:5], v[92:93], s[8:9]
	s_mov_b32 s26, 0x923c349f
	s_mov_b32 s27, 0xbfeec746
	v_add_f64 v[106:107], v[40:41], v[68:69]
	s_mov_b32 s24, 0xc61f0d01
	s_mov_b32 s25, 0xbfd183b1
	v_add_f64 v[112:113], v[68:69], -v[40:41]
	v_add_f64 v[135:136], v[42:43], v[70:71]
	v_add_f64 v[133:134], v[74:75], -v[62:63]
	buffer_store_dword v0, off, s[60:63], 0 offset:80 ; 4-byte Folded Spill
	buffer_store_dword v1, off, s[60:63], 0 offset:84 ; 4-byte Folded Spill
	;; [unrolled: 1-line block ×4, first 2 shown]
	s_mov_b32 s38, 0x6c9a05f6
	s_mov_b32 s39, 0xbfe9895b
	v_add_f64 v[116:117], v[60:61], v[72:73]
	s_mov_b32 s34, 0x6ed5f1bb
	s_mov_b32 s35, 0xbfe348c8
	v_add_f64 v[120:121], v[72:73], -v[60:61]
	v_add_f64 v[139:140], v[62:63], v[74:75]
	v_add_f64 v[137:138], v[66:67], -v[86:87]
	s_mov_b32 s30, 0x4363dd80
	s_mov_b32 s31, 0x3fe0d888
	;; [unrolled: 1-line block ×4, first 2 shown]
	v_add_f64 v[122:123], v[64:65], v[84:85]
	v_add_f64 v[124:125], v[64:65], -v[84:85]
	s_mov_b32 s28, 0x910ea3b9
	s_mov_b32 s29, 0xbfeb34fa
	v_add_f64 v[145:146], v[66:67], v[86:87]
	v_add_f64 v[141:142], v[78:79], -v[82:83]
	s_mov_b32 s42, 0xacd6c6b4
	s_mov_b32 s43, 0xbfc7851a
	;; [unrolled: 4-line block ×3, first 2 shown]
	v_add_f64 v[143:144], v[78:79], v[82:83]
	v_mul_f64 v[195:196], v[155:156], s[8:9]
	v_mul_f64 v[217:218], v[90:91], s[22:23]
	;; [unrolled: 1-line block ×11, first 2 shown]
	s_mov_b32 s45, 0x3feec746
	s_mov_b32 s44, s26
	;; [unrolled: 1-line block ×3, first 2 shown]
	v_mul_f64 v[213:214], v[141:142], s[42:43]
	v_mul_f64 v[233:234], v[133:134], s[44:45]
	;; [unrolled: 1-line block ×3, first 2 shown]
	s_mov_b32 s52, s18
	v_mul_f64 v[219:220], v[128:129], s[42:43]
	v_mul_f64 v[235:236], v[137:138], s[52:53]
	;; [unrolled: 1-line block ×3, first 2 shown]
	s_mov_b32 s47, 0x3fd71e95
	s_mov_b32 s46, s10
	v_fma_f64 v[6:7], v[88:89], s[20:21], v[217:218]
	v_mul_f64 v[237:238], v[141:142], s[46:47]
	v_fma_f64 v[8:9], v[102:103], s[20:21], -v[223:224]
	v_mul_f64 v[251:252], v[128:129], s[46:47]
	v_mul_f64 v[12:13], v[92:93], s[38:39]
	;; [unrolled: 1-line block ×5, first 2 shown]
	s_mov_b32 s49, 0x3fc7851a
	s_mov_b32 s48, s42
	v_mul_f64 v[253:254], v[104:105], s[44:45]
	v_mul_f64 v[245:246], v[100:101], s[48:49]
	s_mov_b32 s51, 0x3fe58eea
	s_mov_b32 s50, s8
	v_mul_f64 v[149:150], v[120:121], s[10:11]
	v_mul_f64 v[161:162], v[112:113], s[50:51]
	;; [unrolled: 1-line block ×11, first 2 shown]
	s_mov_b32 s57, 0x3fe9895b
	s_mov_b32 s56, s38
	v_mul_f64 v[18:19], v[90:91], s[30:31]
	v_fma_f64 v[10:11], v[88:89], s[34:35], v[227:228]
	v_mul_f64 v[163:164], v[124:125], s[56:57]
	v_mul_f64 v[171:172], v[128:129], s[50:51]
	;; [unrolled: 1-line block ×8, first 2 shown]
	s_mov_b32 s55, 0x3fefdd0d
	s_mov_b32 s54, s22
	v_mul_f64 v[183:184], v[124:125], s[10:11]
	v_mul_f64 v[193:194], v[120:121], s[54:55]
	v_fma_f64 v[14:15], v[88:89], s[36:37], v[243:244]
	v_fma_f64 v[130:131], v[102:103], s[28:29], -v[179:180]
	v_fma_f64 v[0:1], v[151:152], s[6:7], v[0:1]
	v_fma_f64 v[2:3], v[88:89], s[4:5], v[2:3]
	v_add_f64 v[0:1], v[20:21], v[0:1]
	v_add_f64 v[0:1], v[2:3], v[0:1]
	v_mul_f64 v[2:3], v[169:170], s[10:11]
	buffer_store_dword v2, off, s[60:63], 0 offset:160 ; 4-byte Folded Spill
	buffer_store_dword v3, off, s[60:63], 0 offset:164 ; 4-byte Folded Spill
	;; [unrolled: 1-line block ×4, first 2 shown]
	v_fma_f64 v[2:3], v[165:166], s[6:7], -v[2:3]
	v_fma_f64 v[4:5], v[102:103], s[4:5], -v[4:5]
	v_add_f64 v[2:3], v[22:23], v[2:3]
	v_add_f64 v[2:3], v[4:5], v[2:3]
	v_mul_f64 v[4:5], v[100:101], s[18:19]
	buffer_store_dword v4, off, s[60:63], 0 offset:64 ; 4-byte Folded Spill
	buffer_store_dword v5, off, s[60:63], 0 offset:68 ; 4-byte Folded Spill
	v_fma_f64 v[4:5], v[94:95], s[16:17], v[4:5]
	v_add_f64 v[0:1], v[4:5], v[0:1]
	v_mul_f64 v[4:5], v[96:97], s[18:19]
	buffer_store_dword v4, off, s[60:63], 0 offset:96 ; 4-byte Folded Spill
	buffer_store_dword v5, off, s[60:63], 0 offset:100 ; 4-byte Folded Spill
	v_fma_f64 v[4:5], v[110:111], s[16:17], -v[4:5]
	v_add_f64 v[2:3], v[4:5], v[2:3]
	v_mul_f64 v[4:5], v[108:109], s[22:23]
	buffer_store_dword v4, off, s[60:63], 0 offset:112 ; 4-byte Folded Spill
	buffer_store_dword v5, off, s[60:63], 0 offset:116 ; 4-byte Folded Spill
	v_fma_f64 v[4:5], v[98:99], s[20:21], v[4:5]
	v_add_f64 v[0:1], v[4:5], v[0:1]
	v_mul_f64 v[4:5], v[104:105], s[22:23]
	buffer_store_dword v4, off, s[60:63], 0 offset:128 ; 4-byte Folded Spill
	buffer_store_dword v5, off, s[60:63], 0 offset:132 ; 4-byte Folded Spill
	v_fma_f64 v[4:5], v[118:119], s[20:21], -v[4:5]
	;; [unrolled: 10-line block ×4, first 2 shown]
	v_add_f64 v[2:3], v[4:5], v[2:3]
	v_mul_f64 v[4:5], v[137:138], s[40:41]
	buffer_store_dword v4, off, s[60:63], 0 offset:184 ; 4-byte Folded Spill
	buffer_store_dword v5, off, s[60:63], 0 offset:188 ; 4-byte Folded Spill
	v_fma_f64 v[4:5], v[122:123], s[28:29], v[4:5]
	v_add_f64 v[0:1], v[4:5], v[0:1]
	v_fma_f64 v[4:5], v[145:146], s[28:29], -v[215:216]
	v_add_f64 v[2:3], v[4:5], v[2:3]
	v_fma_f64 v[4:5], v[126:127], s[36:37], v[213:214]
	v_add_f64 v[0:1], v[4:5], v[0:1]
	v_fma_f64 v[4:5], v[143:144], s[36:37], -v[219:220]
	v_add_f64 v[2:3], v[4:5], v[2:3]
	v_fma_f64 v[4:5], v[151:152], s[4:5], v[195:196]
	v_add_f64 v[4:5], v[20:21], v[4:5]
	v_add_f64 v[4:5], v[6:7], v[4:5]
	v_fma_f64 v[6:7], v[165:166], s[4:5], -v[197:198]
	v_add_f64 v[6:7], v[22:23], v[6:7]
	v_add_f64 v[6:7], v[8:9], v[6:7]
	v_fma_f64 v[8:9], v[94:95], s[34:35], v[221:222]
	v_add_f64 v[4:5], v[8:9], v[4:5]
	v_fma_f64 v[8:9], v[110:111], s[34:35], -v[229:230]
	v_add_f64 v[6:7], v[8:9], v[6:7]
	v_fma_f64 v[8:9], v[98:99], s[36:37], v[225:226]
	v_add_f64 v[4:5], v[8:9], v[4:5]
	v_fma_f64 v[8:9], v[118:119], s[36:37], -v[239:240]
	;; [unrolled: 4-line block ×6, first 2 shown]
	v_add_f64 v[6:7], v[8:9], v[6:7]
	buffer_store_dword v4, off, s[60:63], 0 offset:20 ; 4-byte Folded Spill
	buffer_store_dword v5, off, s[60:63], 0 offset:24 ; 4-byte Folded Spill
	;; [unrolled: 1-line block ×6, first 2 shown]
	v_fma_f64 v[8:9], v[151:152], s[16:17], v[199:200]
	v_mul_f64 v[4:5], v[141:142], s[38:39]
	v_add_f64 v[8:9], v[20:21], v[8:9]
	v_fma_f64 v[185:186], v[126:127], s[34:35], v[4:5]
	v_add_f64 v[8:9], v[10:11], v[8:9]
	v_fma_f64 v[10:11], v[165:166], s[16:17], -v[201:202]
	v_add_f64 v[10:11], v[22:23], v[10:11]
	v_fma_f64 v[12:13], v[102:103], s[34:35], -v[12:13]
	v_add_f64 v[10:11], v[12:13], v[10:11]
	v_fma_f64 v[12:13], v[94:95], s[36:37], v[245:246]
	v_add_f64 v[8:9], v[12:13], v[8:9]
	v_mul_f64 v[12:13], v[96:97], s[48:49]
	buffer_store_dword v12, off, s[60:63], 0 offset:272 ; 4-byte Folded Spill
	buffer_store_dword v13, off, s[60:63], 0 offset:276 ; 4-byte Folded Spill
	v_fma_f64 v[12:13], v[110:111], s[36:37], -v[12:13]
	v_add_f64 v[10:11], v[12:13], v[10:11]
	v_mul_f64 v[12:13], v[108:109], s[44:45]
	buffer_store_dword v12, off, s[60:63], 0 offset:200 ; 4-byte Folded Spill
	buffer_store_dword v13, off, s[60:63], 0 offset:204 ; 4-byte Folded Spill
	v_fma_f64 v[12:13], v[98:99], s[24:25], v[12:13]
	v_add_f64 v[8:9], v[12:13], v[8:9]
	v_fma_f64 v[12:13], v[118:119], s[24:25], -v[253:254]
	v_add_f64 v[10:11], v[12:13], v[10:11]
	v_mul_f64 v[12:13], v[114:115], s[50:51]
	buffer_store_dword v12, off, s[60:63], 0 offset:256 ; 4-byte Folded Spill
	buffer_store_dword v13, off, s[60:63], 0 offset:260 ; 4-byte Folded Spill
	v_fma_f64 v[12:13], v[106:107], s[4:5], v[12:13]
	v_add_f64 v[8:9], v[12:13], v[8:9]
	;; [unrolled: 7-line block ×5, first 2 shown]
	v_mul_f64 v[12:13], v[128:129], s[40:41]
	buffer_store_dword v12, off, s[60:63], 0 offset:320 ; 4-byte Folded Spill
	buffer_store_dword v13, off, s[60:63], 0 offset:324 ; 4-byte Folded Spill
	;; [unrolled: 1-line block ×4, first 2 shown]
	v_fma_f64 v[12:13], v[143:144], s[28:29], -v[12:13]
	v_fma_f64 v[16:17], v[102:103], s[36:37], -v[16:17]
	v_add_f64 v[10:11], v[12:13], v[10:11]
	v_fma_f64 v[12:13], v[151:152], s[20:21], v[203:204]
	v_add_f64 v[12:13], v[20:21], v[12:13]
	v_add_f64 v[12:13], v[14:15], v[12:13]
	v_fma_f64 v[14:15], v[165:166], s[20:21], -v[205:206]
	v_add_f64 v[14:15], v[22:23], v[14:15]
	v_add_f64 v[14:15], v[16:17], v[14:15]
	v_mul_f64 v[16:17], v[100:101], s[44:45]
	buffer_store_dword v16, off, s[60:63], 0 offset:232 ; 4-byte Folded Spill
	buffer_store_dword v17, off, s[60:63], 0 offset:236 ; 4-byte Folded Spill
	v_fma_f64 v[16:17], v[94:95], s[24:25], v[16:17]
	v_add_f64 v[12:13], v[16:17], v[12:13]
	v_fma_f64 v[16:17], v[110:111], s[24:25], -v[153:154]
	v_add_f64 v[14:15], v[16:17], v[14:15]
	v_mul_f64 v[16:17], v[108:109], s[46:47]
	buffer_store_dword v16, off, s[60:63], 0 offset:248 ; 4-byte Folded Spill
	buffer_store_dword v17, off, s[60:63], 0 offset:252 ; 4-byte Folded Spill
	v_fma_f64 v[16:17], v[98:99], s[6:7], v[16:17]
	v_add_f64 v[12:13], v[16:17], v[12:13]
	v_fma_f64 v[16:17], v[118:119], s[6:7], -v[167:168]
	;; [unrolled: 7-line block ×5, first 2 shown]
	v_add_f64 v[14:15], v[16:17], v[14:15]
	v_mul_f64 v[16:17], v[141:142], s[50:51]
	buffer_store_dword v16, off, s[60:63], 0 offset:328 ; 4-byte Folded Spill
	buffer_store_dword v17, off, s[60:63], 0 offset:332 ; 4-byte Folded Spill
	;; [unrolled: 1-line block ×4, first 2 shown]
	v_fma_f64 v[16:17], v[126:127], s[4:5], v[16:17]
	v_fma_f64 v[18:19], v[88:89], s[28:29], v[18:19]
	v_add_f64 v[12:13], v[16:17], v[12:13]
	v_fma_f64 v[16:17], v[143:144], s[4:5], -v[171:172]
	v_add_f64 v[14:15], v[16:17], v[14:15]
	v_fma_f64 v[16:17], v[151:152], s[24:25], v[207:208]
	v_add_f64 v[16:17], v[20:21], v[16:17]
	v_add_f64 v[16:17], v[18:19], v[16:17]
	v_fma_f64 v[18:19], v[165:166], s[24:25], -v[209:210]
	v_add_f64 v[18:19], v[22:23], v[18:19]
	v_add_f64 v[18:19], v[130:131], v[18:19]
	v_mul_f64 v[130:131], v[100:101], s[50:51]
	buffer_store_dword v130, off, s[60:63], 0 offset:280 ; 4-byte Folded Spill
	buffer_store_dword v131, off, s[60:63], 0 offset:284 ; 4-byte Folded Spill
	s_waitcnt_vscnt null, 0x0
	s_barrier
	buffer_gl0_inv
	v_fma_f64 v[130:131], v[94:95], s[4:5], v[130:131]
	v_add_f64 v[16:17], v[130:131], v[16:17]
	v_fma_f64 v[130:131], v[110:111], s[4:5], -v[181:182]
	v_add_f64 v[18:19], v[130:131], v[18:19]
	v_mul_f64 v[130:131], v[108:109], s[18:19]
	v_fma_f64 v[157:158], v[98:99], s[16:17], v[130:131]
	v_add_f64 v[16:17], v[157:158], v[16:17]
	v_fma_f64 v[157:158], v[118:119], s[16:17], -v[187:188]
	v_add_f64 v[18:19], v[157:158], v[18:19]
	v_mul_f64 v[157:158], v[114:115], s[42:43]
	;; [unrolled: 5-line block ×5, first 2 shown]
	v_add_f64 v[18:19], v[177:178], v[18:19]
	v_fma_f64 v[211:212], v[143:144], s[34:35], -v[185:186]
	v_add_f64 v[18:19], v[211:212], v[18:19]
	s_and_saveexec_b32 s33, vcc_lo
	s_cbranch_execz .LBB0_7
; %bb.6:
	v_add_f64 v[52:53], v[20:21], v[52:53]
	v_add_f64 v[54:55], v[22:23], v[54:55]
	v_mov_b32_e32 v178, v176
	v_mov_b32_e32 v177, v175
	;; [unrolled: 1-line block ×20, first 2 shown]
	v_add_f64 v[52:53], v[56:57], v[52:53]
	v_add_f64 v[54:55], v[58:59], v[54:55]
	s_clause 0x1
	buffer_load_dword v58, off, s[60:63], 0 offset:160
	buffer_load_dword v59, off, s[60:63], 0 offset:164
	v_mul_f64 v[56:57], v[165:166], s[6:7]
	v_add_f64 v[44:45], v[44:45], v[52:53]
	v_add_f64 v[46:47], v[46:47], v[54:55]
	v_mul_f64 v[54:55], v[151:152], s[4:5]
	v_mul_f64 v[52:53], v[165:166], s[4:5]
	v_add_f64 v[44:45], v[48:49], v[44:45]
	v_add_f64 v[46:47], v[50:51], v[46:47]
	v_mul_f64 v[48:49], v[165:166], s[16:17]
	v_mul_f64 v[50:51], v[151:152], s[16:17]
	v_add_f64 v[54:55], v[54:55], -v[195:196]
	v_add_f64 v[52:53], v[197:198], v[52:53]
	v_mul_f64 v[195:196], v[141:142], s[54:55]
	v_mul_f64 v[197:198], v[133:134], s[42:43]
	v_add_f64 v[44:45], v[68:69], v[44:45]
	v_add_f64 v[46:47], v[70:71], v[46:47]
	;; [unrolled: 1-line block ×3, first 2 shown]
	v_mul_f64 v[70:71], v[151:152], s[6:7]
	v_add_f64 v[50:51], v[50:51], -v[199:200]
	v_mul_f64 v[199:200], v[145:146], s[4:5]
	v_mul_f64 v[201:202], v[137:138], s[50:51]
	v_add_f64 v[44:45], v[72:73], v[44:45]
	s_clause 0x1
	buffer_load_dword v72, off, s[60:63], 0 offset:80
	buffer_load_dword v73, off, s[60:63], 0 offset:84
	v_add_f64 v[46:47], v[74:75], v[46:47]
	v_add_f64 v[44:45], v[64:65], v[44:45]
	;; [unrolled: 1-line block ×10, first 2 shown]
	v_mul_f64 v[60:61], v[155:156], s[40:41]
	v_add_f64 v[46:47], v[62:63], v[46:47]
	v_mul_f64 v[62:63], v[155:156], s[38:39]
	v_add_f64 v[40:41], v[40:41], v[44:45]
	;; [unrolled: 2-line block ×3, first 2 shown]
	v_mul_f64 v[46:47], v[151:152], s[20:21]
	v_fma_f64 v[66:67], v[151:152], s[28:29], v[60:61]
	v_fma_f64 v[60:61], v[151:152], s[28:29], -v[60:61]
	v_fma_f64 v[68:69], v[151:152], s[34:35], v[62:63]
	v_fma_f64 v[62:63], v[151:152], s[34:35], -v[62:63]
	v_add_f64 v[36:37], v[36:37], v[40:41]
	v_add_f64 v[44:45], v[205:206], v[44:45]
	;; [unrolled: 1-line block ×3, first 2 shown]
	v_mul_f64 v[42:43], v[151:152], s[24:25]
	v_mul_f64 v[40:41], v[165:166], s[24:25]
	v_add_f64 v[46:47], v[46:47], -v[203:204]
	v_add_f64 v[66:67], v[20:21], v[66:67]
	v_add_f64 v[68:69], v[20:21], v[68:69]
	;; [unrolled: 1-line block ×3, first 2 shown]
	v_mul_f64 v[203:204], v[143:144], s[24:25]
	v_mul_f64 v[205:206], v[141:142], s[26:27]
	v_add_f64 v[32:33], v[32:33], v[36:37]
	v_mul_f64 v[36:37], v[165:166], s[34:35]
	v_add_f64 v[34:35], v[34:35], v[38:39]
	v_add_f64 v[42:43], v[42:43], -v[207:208]
	v_add_f64 v[80:81], v[22:23], v[44:45]
	v_add_f64 v[44:45], v[22:23], v[48:49]
	v_mul_f64 v[48:49], v[102:103], s[6:7]
	v_add_f64 v[40:41], v[209:210], v[40:41]
	v_add_f64 v[82:83], v[20:21], v[46:47]
	;; [unrolled: 1-line block ×3, first 2 shown]
	v_mul_f64 v[50:51], v[110:111], s[28:29]
	v_add_f64 v[28:29], v[28:29], v[32:33]
	v_mul_f64 v[32:33], v[165:166], s[28:29]
	v_add_f64 v[30:31], v[30:31], v[34:35]
	v_fma_f64 v[38:39], v[169:170], s[56:57], v[36:37]
	v_add_f64 v[78:79], v[20:21], v[42:43]
	v_add_f64 v[42:43], v[20:21], v[54:55]
	v_fma_f64 v[36:37], v[169:170], s[38:39], v[36:37]
	v_add_f64 v[76:77], v[22:23], v[40:41]
	;; [unrolled: 3-line block ×3, first 2 shown]
	v_mul_f64 v[28:29], v[165:166], s[36:37]
	v_add_f64 v[26:27], v[26:27], v[30:31]
	v_fma_f64 v[34:35], v[169:170], s[30:31], v[32:33]
	v_add_f64 v[74:75], v[22:23], v[38:39]
	v_fma_f64 v[32:33], v[169:170], s[40:41], v[32:33]
	s_waitcnt vmcnt(2)
	v_add_f64 v[56:57], v[58:59], v[56:57]
	v_mul_f64 v[58:59], v[155:156], s[42:43]
	v_fma_f64 v[30:31], v[169:170], s[48:49], v[28:29]
	v_fma_f64 v[28:29], v[169:170], s[42:43], v[28:29]
	v_mul_f64 v[169:170], v[143:144], s[20:21]
	v_add_f64 v[32:33], v[22:23], v[32:33]
	v_fma_f64 v[64:65], v[151:152], s[36:37], v[58:59]
	v_fma_f64 v[58:59], v[151:152], s[36:37], -v[58:59]
	v_add_f64 v[30:31], v[22:23], v[30:31]
	v_add_f64 v[28:29], v[22:23], v[28:29]
	;; [unrolled: 1-line block ×4, first 2 shown]
	s_waitcnt vmcnt(0)
	v_add_f64 v[70:71], v[70:71], -v[72:73]
	v_add_f64 v[72:73], v[22:23], v[34:35]
	v_add_f64 v[34:35], v[20:21], v[60:61]
	;; [unrolled: 1-line block ×5, first 2 shown]
	v_fma_f64 v[20:21], v[92:93], s[10:11], v[48:49]
	v_fma_f64 v[48:49], v[92:93], s[46:47], v[48:49]
	v_add_f64 v[20:21], v[20:21], v[30:31]
	v_mul_f64 v[30:31], v[90:91], s[46:47]
	v_add_f64 v[28:29], v[48:49], v[28:29]
	v_fma_f64 v[48:49], v[96:97], s[40:41], v[50:51]
	v_fma_f64 v[50:51], v[126:127], s[20:21], -v[195:196]
	v_add_f64 v[20:21], v[52:53], v[20:21]
	v_fma_f64 v[22:23], v[88:89], s[6:7], v[30:31]
	v_mul_f64 v[52:53], v[100:101], s[40:41]
	v_fma_f64 v[30:31], v[88:89], s[6:7], -v[30:31]
	v_add_f64 v[28:29], v[48:49], v[28:29]
	v_add_f64 v[22:23], v[22:23], v[64:65]
	v_fma_f64 v[54:55], v[94:95], s[28:29], v[52:53]
	v_add_f64 v[30:31], v[30:31], v[58:59]
	v_fma_f64 v[48:49], v[94:95], s[28:29], -v[52:53]
	v_add_f64 v[22:23], v[54:55], v[22:23]
	v_mul_f64 v[54:55], v[118:119], s[4:5]
	v_add_f64 v[30:31], v[48:49], v[30:31]
	v_fma_f64 v[56:57], v[104:105], s[8:9], v[54:55]
	v_fma_f64 v[48:49], v[104:105], s[50:51], v[54:55]
	v_add_f64 v[20:21], v[56:57], v[20:21]
	v_mul_f64 v[56:57], v[108:109], s[50:51]
	v_add_f64 v[28:29], v[48:49], v[28:29]
	v_fma_f64 v[64:65], v[98:99], s[4:5], v[56:57]
	v_fma_f64 v[48:49], v[98:99], s[4:5], -v[56:57]
	v_add_f64 v[22:23], v[64:65], v[22:23]
	v_mul_f64 v[64:65], v[135:136], s[34:35]
	v_add_f64 v[30:31], v[48:49], v[30:31]
	v_fma_f64 v[70:71], v[112:113], s[56:57], v[64:65]
	v_fma_f64 v[48:49], v[112:113], s[38:39], v[64:65]
	v_mul_f64 v[64:65], v[102:103], s[16:17]
	v_add_f64 v[20:21], v[70:71], v[20:21]
	v_mul_f64 v[70:71], v[114:115], s[38:39]
	v_add_f64 v[28:29], v[48:49], v[28:29]
	v_fma_f64 v[84:85], v[106:107], s[34:35], v[70:71]
	v_fma_f64 v[48:49], v[106:107], s[34:35], -v[70:71]
	v_mul_f64 v[70:71], v[90:91], s[52:53]
	v_mul_f64 v[90:91], v[90:91], s[44:45]
	v_add_f64 v[22:23], v[84:85], v[22:23]
	v_mul_f64 v[84:85], v[139:140], s[16:17]
	v_add_f64 v[30:31], v[48:49], v[30:31]
	v_fma_f64 v[86:87], v[120:121], s[18:19], v[84:85]
	v_fma_f64 v[48:49], v[120:121], s[52:53], v[84:85]
	v_mul_f64 v[84:85], v[110:111], s[20:21]
	v_add_f64 v[20:21], v[86:87], v[20:21]
	v_mul_f64 v[86:87], v[133:134], s[52:53]
	v_add_f64 v[28:29], v[48:49], v[28:29]
	v_fma_f64 v[151:152], v[116:117], s[16:17], v[86:87]
	v_fma_f64 v[48:49], v[116:117], s[16:17], -v[86:87]
	v_mul_f64 v[86:87], v[100:101], s[22:23]
	v_mul_f64 v[100:101], v[100:101], s[10:11]
	v_add_f64 v[22:23], v[151:152], v[22:23]
	v_mul_f64 v[151:152], v[145:146], s[24:25]
	v_add_f64 v[30:31], v[48:49], v[30:31]
	v_fma_f64 v[155:156], v[124:125], s[44:45], v[151:152]
	v_fma_f64 v[48:49], v[124:125], s[26:27], v[151:152]
	v_mul_f64 v[151:152], v[118:119], s[34:35]
	v_add_f64 v[20:21], v[155:156], v[20:21]
	v_mul_f64 v[155:156], v[137:138], s[26:27]
	v_add_f64 v[28:29], v[48:49], v[28:29]
	v_fma_f64 v[48:49], v[122:123], s[24:25], -v[155:156]
	v_fma_f64 v[165:166], v[122:123], s[24:25], v[155:156]
	v_mul_f64 v[155:156], v[108:109], s[56:57]
	v_mul_f64 v[108:109], v[108:109], s[40:41]
	v_add_f64 v[48:49], v[48:49], v[30:31]
	v_fma_f64 v[30:31], v[128:129], s[54:55], v[169:170]
	v_add_f64 v[165:166], v[165:166], v[22:23]
	v_fma_f64 v[22:23], v[128:129], s[22:23], v[169:170]
	v_mul_f64 v[169:170], v[114:115], s[10:11]
	v_mul_f64 v[114:115], v[114:115], s[54:55]
	v_add_f64 v[30:31], v[30:31], v[28:29]
	v_add_f64 v[28:29], v[50:51], v[48:49]
	v_fma_f64 v[48:49], v[92:93], s[52:53], v[64:65]
	s_clause 0x7
	buffer_load_dword v50, off, s[60:63], 0 offset:56
	buffer_load_dword v51, off, s[60:63], 0 offset:60
	;; [unrolled: 1-line block ×8, first 2 shown]
	v_add_f64 v[22:23], v[22:23], v[20:21]
	v_fma_f64 v[20:21], v[126:127], s[20:21], v[195:196]
	v_mul_f64 v[195:196], v[139:140], s[36:37]
	s_clause 0x9
	buffer_load_dword v58, off, s[60:63], 0 offset:128
	buffer_load_dword v59, off, s[60:63], 0 offset:132
	;; [unrolled: 1-line block ×10, first 2 shown]
	v_add_f64 v[32:33], v[48:49], v[32:33]
	v_fma_f64 v[48:49], v[88:89], s[16:17], -v[70:71]
	v_add_f64 v[20:21], v[20:21], v[165:166]
	v_mul_f64 v[165:166], v[135:136], s[6:7]
	v_add_f64 v[34:35], v[48:49], v[34:35]
	v_fma_f64 v[48:49], v[96:97], s[22:23], v[84:85]
	v_add_f64 v[32:33], v[48:49], v[32:33]
	v_fma_f64 v[48:49], v[94:95], s[20:21], -v[86:87]
	v_add_f64 v[34:35], v[48:49], v[34:35]
	v_fma_f64 v[48:49], v[104:105], s[56:57], v[151:152]
	v_add_f64 v[32:33], v[48:49], v[32:33]
	v_fma_f64 v[48:49], v[98:99], s[34:35], -v[155:156]
	;; [unrolled: 4-line block ×6, first 2 shown]
	v_add_f64 v[32:33], v[32:33], v[48:49]
	v_mul_f64 v[48:49], v[102:103], s[4:5]
	s_waitcnt vmcnt(16)
	v_add_f64 v[48:49], v[50:51], v[48:49]
	v_mul_f64 v[50:51], v[88:89], s[4:5]
	v_add_f64 v[36:37], v[48:49], v[36:37]
	s_waitcnt vmcnt(14)
	v_add_f64 v[50:51], v[50:51], -v[52:53]
	v_mul_f64 v[52:53], v[110:111], s[16:17]
	v_mul_f64 v[48:49], v[116:117], s[34:35]
	v_add_f64 v[38:39], v[50:51], v[38:39]
	s_waitcnt vmcnt(12)
	v_add_f64 v[52:53], v[54:55], v[52:53]
	v_mul_f64 v[54:55], v[94:95], s[16:17]
	s_clause 0x1
	buffer_load_dword v50, off, s[60:63], 0 offset:168
	buffer_load_dword v51, off, s[60:63], 0 offset:172
	v_add_f64 v[36:37], v[52:53], v[36:37]
	s_waitcnt vmcnt(12)
	v_add_f64 v[54:55], v[54:55], -v[56:57]
	v_mul_f64 v[56:57], v[118:119], s[20:21]
	v_mul_f64 v[52:53], v[122:123], s[28:29]
	v_add_f64 v[38:39], v[54:55], v[38:39]
	s_clause 0x1
	buffer_load_dword v54, off, s[60:63], 0 offset:184
	buffer_load_dword v55, off, s[60:63], 0 offset:188
	s_waitcnt vmcnt(12)
	v_add_f64 v[56:57], v[58:59], v[56:57]
	v_mul_f64 v[58:59], v[98:99], s[20:21]
	v_add_f64 v[36:37], v[56:57], v[36:37]
	s_waitcnt vmcnt(10)
	v_add_f64 v[58:59], v[58:59], -v[207:208]
	v_mul_f64 v[207:208], v[135:136], s[24:25]
	v_mul_f64 v[56:57], v[118:119], s[36:37]
	v_add_f64 v[38:39], v[58:59], v[38:39]
	s_waitcnt vmcnt(8)
	v_add_f64 v[207:208], v[209:210], v[207:208]
	v_mul_f64 v[209:210], v[106:107], s[24:25]
	v_mul_f64 v[58:59], v[98:99], s[36:37]
	v_add_f64 v[56:57], v[239:240], v[56:57]
	v_add_f64 v[36:37], v[207:208], v[36:37]
	s_waitcnt vmcnt(6)
	v_add_f64 v[209:210], v[209:210], -v[211:212]
	v_mul_f64 v[211:212], v[139:140], s[34:35]
	v_add_f64 v[58:59], v[58:59], -v[227:228]
	v_mul_f64 v[207:208], v[135:136], s[28:29]
	v_add_f64 v[38:39], v[209:210], v[38:39]
	s_waitcnt vmcnt(4)
	v_add_f64 v[211:212], v[213:214], v[211:212]
	v_mul_f64 v[209:210], v[106:107], s[28:29]
	v_add_f64 v[207:208], v[241:242], v[207:208]
	v_add_f64 v[36:37], v[211:212], v[36:37]
	v_add_f64 v[209:210], v[209:210], -v[231:232]
	v_mul_f64 v[211:212], v[139:140], s[24:25]
	v_add_f64 v[211:212], v[247:248], v[211:212]
	s_waitcnt vmcnt(2)
	v_add_f64 v[48:49], v[48:49], -v[50:51]
	v_mul_f64 v[50:51], v[145:146], s[28:29]
	v_add_f64 v[38:39], v[48:49], v[38:39]
	v_add_f64 v[50:51], v[215:216], v[50:51]
	v_mul_f64 v[48:49], v[126:127], s[36:37]
	s_waitcnt vmcnt(0)
	v_add_f64 v[52:53], v[52:53], -v[54:55]
	v_mul_f64 v[54:55], v[143:144], s[36:37]
	v_add_f64 v[48:49], v[48:49], -v[217:218]
	v_add_f64 v[36:37], v[50:51], v[36:37]
	v_add_f64 v[50:51], v[52:53], v[38:39]
	;; [unrolled: 1-line block ×3, first 2 shown]
	v_mul_f64 v[52:53], v[110:111], s[34:35]
	v_add_f64 v[38:39], v[54:55], v[36:37]
	v_add_f64 v[36:37], v[48:49], v[50:51]
	v_mul_f64 v[48:49], v[102:103], s[20:21]
	v_mul_f64 v[50:51], v[88:89], s[20:21]
	;; [unrolled: 1-line block ×3, first 2 shown]
	v_add_f64 v[52:53], v[229:230], v[52:53]
	v_add_f64 v[48:49], v[223:224], v[48:49]
	v_add_f64 v[50:51], v[50:51], -v[221:222]
	v_add_f64 v[54:55], v[54:55], -v[225:226]
	v_add_f64 v[40:41], v[48:49], v[40:41]
	v_add_f64 v[42:43], v[50:51], v[42:43]
	v_mul_f64 v[48:49], v[116:117], s[24:25]
	v_mul_f64 v[50:51], v[145:146], s[16:17]
	v_add_f64 v[40:41], v[52:53], v[40:41]
	v_add_f64 v[42:43], v[54:55], v[42:43]
	v_add_f64 v[48:49], v[48:49], -v[233:234]
	v_mul_f64 v[52:53], v[122:123], s[16:17]
	v_add_f64 v[50:51], v[249:250], v[50:51]
	v_mul_f64 v[54:55], v[143:144], s[6:7]
	v_add_f64 v[40:41], v[56:57], v[40:41]
	v_add_f64 v[42:43], v[58:59], v[42:43]
	v_mul_f64 v[56:57], v[135:136], s[4:5]
	v_add_f64 v[52:53], v[52:53], -v[235:236]
	v_mul_f64 v[58:59], v[94:95], s[36:37]
	v_add_f64 v[54:55], v[251:252], v[54:55]
	v_add_f64 v[40:41], v[207:208], v[40:41]
	;; [unrolled: 1-line block ×4, first 2 shown]
	v_mul_f64 v[161:162], v[98:99], s[24:25]
	v_add_f64 v[58:59], v[58:59], -v[245:246]
	v_add_f64 v[40:41], v[211:212], v[40:41]
	v_add_f64 v[42:43], v[48:49], v[42:43]
	v_mul_f64 v[48:49], v[126:127], s[6:7]
	v_add_f64 v[40:41], v[50:51], v[40:41]
	v_add_f64 v[50:51], v[52:53], v[42:43]
	v_add_f64 v[48:49], v[48:49], -v[237:238]
	v_add_f64 v[42:43], v[54:55], v[40:41]
	v_mul_f64 v[54:55], v[88:89], s[34:35]
	v_add_f64 v[40:41], v[48:49], v[50:51]
	s_clause 0x7
	buffer_load_dword v50, off, s[60:63], 0 offset:208
	buffer_load_dword v51, off, s[60:63], 0 offset:212
	buffer_load_dword v52, off, s[60:63], 0 offset:272
	buffer_load_dword v53, off, s[60:63], 0 offset:276
	buffer_load_dword v207, off, s[60:63], 0 offset:200
	buffer_load_dword v208, off, s[60:63], 0 offset:204
	buffer_load_dword v209, off, s[60:63], 0 offset:256
	buffer_load_dword v210, off, s[60:63], 0 offset:260
	v_mul_f64 v[48:49], v[102:103], s[34:35]
	v_add_f64 v[54:55], v[54:55], -v[243:244]
	v_add_f64 v[46:47], v[54:55], v[46:47]
	s_clause 0x1
	buffer_load_dword v54, off, s[60:63], 0 offset:264
	buffer_load_dword v55, off, s[60:63], 0 offset:268
	v_add_f64 v[46:47], v[58:59], v[46:47]
	s_waitcnt vmcnt(8)
	v_add_f64 v[48:49], v[50:51], v[48:49]
	v_mul_f64 v[50:51], v[110:111], s[36:37]
	s_waitcnt vmcnt(4)
	v_add_f64 v[161:162], v[161:162], -v[207:208]
	v_mul_f64 v[207:208], v[106:107], s[4:5]
	v_add_f64 v[44:45], v[48:49], v[44:45]
	v_add_f64 v[50:51], v[52:53], v[50:51]
	v_mul_f64 v[52:53], v[118:119], s[24:25]
	v_mul_f64 v[48:49], v[116:117], s[6:7]
	s_waitcnt vmcnt(2)
	v_add_f64 v[207:208], v[207:208], -v[209:210]
	v_mul_f64 v[209:210], v[139:140], s[6:7]
	v_add_f64 v[46:47], v[161:162], v[46:47]
	v_add_f64 v[44:45], v[50:51], v[44:45]
	;; [unrolled: 1-line block ×3, first 2 shown]
	s_waitcnt vmcnt(0)
	v_add_f64 v[48:49], v[48:49], -v[54:55]
	s_clause 0x1
	buffer_load_dword v54, off, s[60:63], 0 offset:240
	buffer_load_dword v55, off, s[60:63], 0 offset:244
	v_add_f64 v[149:150], v[149:150], v[209:210]
	v_mul_f64 v[50:51], v[145:146], s[20:21]
	v_add_f64 v[46:47], v[207:208], v[46:47]
	v_add_f64 v[44:45], v[52:53], v[44:45]
	v_mul_f64 v[52:53], v[122:123], s[20:21]
	v_add_f64 v[50:51], v[147:148], v[50:51]
	;; [unrolled: 3-line block ×3, first 2 shown]
	s_clause 0x1
	buffer_load_dword v56, off, s[60:63], 0 offset:320
	buffer_load_dword v57, off, s[60:63], 0 offset:324
	v_add_f64 v[44:45], v[149:150], v[44:45]
	v_add_f64 v[44:45], v[50:51], v[44:45]
	s_waitcnt vmcnt(2)
	v_add_f64 v[52:53], v[52:53], -v[54:55]
	v_mul_f64 v[54:55], v[143:144], s[28:29]
	v_add_f64 v[50:51], v[52:53], v[46:47]
	s_waitcnt vmcnt(0)
	v_add_f64 v[54:55], v[56:57], v[54:55]
	s_clause 0x5
	buffer_load_dword v56, off, s[60:63], 0 offset:224
	buffer_load_dword v57, off, s[60:63], 0 offset:228
	;; [unrolled: 1-line block ×6, first 2 shown]
	v_add_f64 v[46:47], v[54:55], v[44:45]
	v_mul_f64 v[54:55], v[118:119], s[6:7]
	v_add_f64 v[54:55], v[167:168], v[54:55]
	s_waitcnt vmcnt(4)
	v_add_f64 v[48:49], v[48:49], -v[56:57]
	v_mul_f64 v[56:57], v[94:95], s[24:25]
	v_add_f64 v[44:45], v[48:49], v[50:51]
	v_mul_f64 v[50:51], v[102:103], s[36:37]
	s_waitcnt vmcnt(0)
	v_add_f64 v[56:57], v[56:57], -v[58:59]
	v_mul_f64 v[58:59], v[98:99], s[6:7]
	v_mul_f64 v[48:49], v[135:136], s[16:17]
	v_add_f64 v[50:51], v[52:53], v[50:51]
	v_mul_f64 v[52:53], v[110:111], s[24:25]
	v_add_f64 v[48:49], v[189:190], v[48:49]
	v_add_f64 v[50:51], v[50:51], v[80:81]
	s_clause 0x1
	buffer_load_dword v80, off, s[60:63], 0 offset:248
	buffer_load_dword v81, off, s[60:63], 0 offset:252
	v_add_f64 v[52:53], v[153:154], v[52:53]
	v_add_f64 v[50:51], v[52:53], v[50:51]
	v_mul_f64 v[52:53], v[88:89], s[36:37]
	v_add_f64 v[50:51], v[54:55], v[50:51]
	v_add_f64 v[52:53], v[52:53], -v[130:131]
	v_mul_f64 v[54:55], v[106:107], s[16:17]
	v_mul_f64 v[130:131], v[137:138], s[42:43]
	v_add_f64 v[48:49], v[48:49], v[50:51]
	v_add_f64 v[52:53], v[52:53], v[82:83]
	v_mul_f64 v[50:51], v[116:117], s[28:29]
	v_mul_f64 v[82:83], v[135:136], s[20:21]
	v_add_f64 v[52:53], v[56:57], v[52:53]
	s_clause 0x1
	buffer_load_dword v56, off, s[60:63], 0 offset:288
	buffer_load_dword v57, off, s[60:63], 0 offset:292
	s_waitcnt vmcnt(2)
	v_add_f64 v[58:59], v[58:59], -v[80:81]
	v_mul_f64 v[80:81], v[118:119], s[28:29]
	v_add_f64 v[52:53], v[58:59], v[52:53]
	s_clause 0x1
	buffer_load_dword v58, off, s[60:63], 0 offset:296
	buffer_load_dword v59, off, s[60:63], 0 offset:300
	s_waitcnt vmcnt(2)
	v_add_f64 v[54:55], v[54:55], -v[56:57]
	v_mul_f64 v[56:57], v[139:140], s[28:29]
	v_add_f64 v[52:53], v[54:55], v[52:53]
	v_add_f64 v[56:57], v[159:160], v[56:57]
	v_mul_f64 v[54:55], v[145:146], s[34:35]
	v_add_f64 v[48:49], v[56:57], v[48:49]
	v_mul_f64 v[56:57], v[122:123], s[34:35]
	v_add_f64 v[54:55], v[163:164], v[54:55]
	v_add_f64 v[48:49], v[54:55], v[48:49]
	v_mul_f64 v[54:55], v[126:127], s[4:5]
	s_waitcnt vmcnt(0)
	v_add_f64 v[50:51], v[50:51], -v[58:59]
	s_clause 0x1
	buffer_load_dword v58, off, s[60:63], 0 offset:312
	buffer_load_dword v59, off, s[60:63], 0 offset:316
	v_add_f64 v[50:51], v[50:51], v[52:53]
	v_mul_f64 v[52:53], v[143:144], s[4:5]
	v_add_f64 v[52:53], v[171:172], v[52:53]
	s_waitcnt vmcnt(0)
	v_add_f64 v[56:57], v[56:57], -v[58:59]
	s_clause 0x1
	buffer_load_dword v58, off, s[60:63], 0 offset:328
	buffer_load_dword v59, off, s[60:63], 0 offset:332
	v_add_f64 v[56:57], v[56:57], v[50:51]
	v_add_f64 v[50:51], v[52:53], v[48:49]
	v_mul_f64 v[52:53], v[102:103], s[28:29]
	v_add_f64 v[52:53], v[179:180], v[52:53]
	v_add_f64 v[52:53], v[52:53], v[76:77]
	s_waitcnt vmcnt(0)
	v_add_f64 v[54:55], v[54:55], -v[58:59]
	s_clause 0x3
	buffer_load_dword v58, off, s[60:63], 0 offset:216
	buffer_load_dword v59, off, s[60:63], 0 offset:220
	buffer_load_dword v76, off, s[60:63], 0 offset:280
	buffer_load_dword v77, off, s[60:63], 0 offset:284
	v_add_f64 v[48:49], v[54:55], v[56:57]
	v_mul_f64 v[54:55], v[110:111], s[4:5]
	v_mul_f64 v[56:57], v[118:119], s[16:17]
	;; [unrolled: 1-line block ×4, first 2 shown]
	v_add_f64 v[54:55], v[181:182], v[54:55]
	v_add_f64 v[56:57], v[187:188], v[56:57]
	v_add_f64 v[52:53], v[54:55], v[52:53]
	v_mul_f64 v[54:55], v[135:136], s[36:37]
	v_mul_f64 v[135:136], v[141:142], s[52:53]
	v_add_f64 v[52:53], v[56:57], v[52:53]
	v_add_f64 v[54:55], v[191:192], v[54:55]
	v_mul_f64 v[56:57], v[139:140], s[20:21]
	v_add_f64 v[52:53], v[54:55], v[52:53]
	v_mul_f64 v[54:55], v[88:89], s[28:29]
	v_add_f64 v[56:57], v[193:194], v[56:57]
	v_add_f64 v[52:53], v[56:57], v[52:53]
	v_mul_f64 v[56:57], v[122:123], s[6:7]
	v_add_f64 v[56:57], v[56:57], -v[177:178]
	s_waitcnt vmcnt(2)
	v_add_f64 v[54:55], v[54:55], -v[58:59]
	v_mul_f64 v[58:59], v[94:95], s[4:5]
	v_add_f64 v[54:55], v[54:55], v[78:79]
	s_waitcnt vmcnt(0)
	v_add_f64 v[58:59], v[58:59], -v[76:77]
	v_mul_f64 v[76:77], v[98:99], s[16:17]
	v_mul_f64 v[78:79], v[110:111], s[6:7]
	;; [unrolled: 1-line block ×3, first 2 shown]
	v_add_f64 v[54:55], v[58:59], v[54:55]
	v_add_f64 v[76:77], v[76:77], -v[157:158]
	v_mul_f64 v[58:59], v[106:107], s[36:37]
	v_add_f64 v[54:55], v[76:77], v[54:55]
	v_add_f64 v[58:59], v[58:59], -v[173:174]
	v_mul_f64 v[76:77], v[116:117], s[20:21]
	;; [unrolled: 3-line block ×3, first 2 shown]
	v_add_f64 v[54:55], v[76:77], v[54:55]
	v_add_f64 v[58:59], v[183:184], v[58:59]
	v_mul_f64 v[76:77], v[143:144], s[34:35]
	v_add_f64 v[56:57], v[56:57], v[54:55]
	v_add_f64 v[52:53], v[58:59], v[52:53]
	v_add_f64 v[76:77], v[185:186], v[76:77]
	v_mul_f64 v[58:59], v[126:127], s[34:35]
	v_add_f64 v[54:55], v[76:77], v[52:53]
	v_add_f64 v[58:59], v[58:59], -v[4:5]
	v_mul_f64 v[76:77], v[102:103], s[24:25]
	v_mul_f64 v[102:103], v[139:140], s[4:5]
	v_add_f64 v[52:53], v[58:59], v[56:57]
	v_fma_f64 v[56:57], v[92:93], s[44:45], v[76:77]
	v_fma_f64 v[58:59], v[96:97], s[10:11], v[78:79]
	v_add_f64 v[56:57], v[56:57], v[60:61]
	v_fma_f64 v[60:61], v[94:95], s[6:7], -v[100:101]
	v_add_f64 v[56:57], v[58:59], v[56:57]
	v_fma_f64 v[58:59], v[104:105], s[40:41], v[80:81]
	v_add_f64 v[56:57], v[58:59], v[56:57]
	v_fma_f64 v[58:59], v[112:113], s[54:55], v[82:83]
	;; [unrolled: 2-line block ×4, first 2 shown]
	v_add_f64 v[56:57], v[58:59], v[56:57]
	v_fma_f64 v[58:59], v[88:89], s[24:25], -v[90:91]
	v_add_f64 v[58:59], v[58:59], v[62:63]
	v_fma_f64 v[62:63], v[88:89], s[16:17], v[70:71]
	v_fma_f64 v[70:71], v[96:97], s[46:47], v[78:79]
	v_add_f64 v[58:59], v[60:61], v[58:59]
	v_fma_f64 v[60:61], v[98:99], s[28:29], -v[108:109]
	v_add_f64 v[62:63], v[62:63], v[66:67]
	v_fma_f64 v[66:67], v[126:127], s[24:25], v[205:206]
	v_add_f64 v[58:59], v[60:61], v[58:59]
	v_fma_f64 v[60:61], v[106:107], s[20:21], -v[114:115]
	v_add_f64 v[58:59], v[60:61], v[58:59]
	v_fma_f64 v[60:61], v[116:117], s[4:5], -v[118:119]
	;; [unrolled: 2-line block ×3, first 2 shown]
	v_add_f64 v[60:61], v[60:61], v[58:59]
	v_fma_f64 v[58:59], v[128:129], s[52:53], v[133:134]
	v_add_f64 v[58:59], v[58:59], v[56:57]
	v_fma_f64 v[56:57], v[126:127], s[16:17], -v[135:136]
	v_add_f64 v[56:57], v[56:57], v[60:61]
	v_fma_f64 v[60:61], v[92:93], s[18:19], v[64:65]
	v_fma_f64 v[64:65], v[96:97], s[54:55], v[84:85]
	v_add_f64 v[60:61], v[60:61], v[72:73]
	v_fma_f64 v[72:73], v[104:105], s[30:31], v[80:81]
	v_add_f64 v[60:61], v[64:65], v[60:61]
	;; [unrolled: 2-line block ×12, first 2 shown]
	v_add_f64 v[60:61], v[66:67], v[64:65]
	v_fma_f64 v[66:67], v[88:89], s[24:25], v[90:91]
	v_fma_f64 v[64:65], v[92:93], s[26:27], v[76:77]
	v_add_f64 v[66:67], v[66:67], v[68:69]
	v_fma_f64 v[68:69], v[94:95], s[6:7], v[100:101]
	v_add_f64 v[64:65], v[64:65], v[74:75]
	v_add_f64 v[66:67], v[68:69], v[66:67]
	v_fma_f64 v[68:69], v[98:99], s[28:29], v[108:109]
	v_add_f64 v[64:65], v[70:71], v[64:65]
	v_fma_f64 v[70:71], v[112:113], s[22:23], v[82:83]
	;; [unrolled: 2-line block ×8, first 2 shown]
	v_add_f64 v[68:69], v[68:69], v[66:67]
	buffer_load_dword v66, off, s[60:63], 0 ; 4-byte Folded Reload
	v_add_f64 v[64:65], v[70:71], v[64:65]
	v_fma_f64 v[70:71], v[126:127], s[16:17], v[135:136]
	s_waitcnt vmcnt(0)
	v_mul_lo_u16 v74, v66, 17
	v_add_f64 v[66:67], v[72:73], v[64:65]
	v_add_f64 v[64:65], v[70:71], v[68:69]
	buffer_load_dword v69, off, s[60:63], 0 offset:4 ; 4-byte Folded Reload
	v_and_b32_e32 v68, 0xffff, v74
	s_waitcnt vmcnt(0)
	v_add_lshl_u32 v68, v69, v68, 4
	ds_write_b128 v68, v[24:27]
	ds_write_b128 v68, v[36:39] offset:16
	ds_write_b128 v68, v[40:43] offset:32
	;; [unrolled: 1-line block ×14, first 2 shown]
	s_clause 0x3
	buffer_load_dword v4, off, s[60:63], 0 offset:20
	buffer_load_dword v5, off, s[60:63], 0 offset:24
	;; [unrolled: 1-line block ×4, first 2 shown]
	s_waitcnt vmcnt(0)
	ds_write_b128 v68, v[4:7] offset:240
	ds_write_b128 v68, v[0:3] offset:256
.LBB0_7:
	s_or_b32 exec_lo, exec_lo, s33
	buffer_load_dword v36, off, s[60:63], 0 ; 4-byte Folded Reload
	s_load_dwordx4 s[4:7], s[0:1], 0x0
	s_waitcnt vmcnt(0) lgkmcnt(0)
	s_barrier
	buffer_gl0_inv
	v_add_co_u32 v52, null, v36, 34
	v_mad_u64_u32 v[93:94], null, v36, 48, s[2:3]
	v_lshlrev_b32_e32 v35, 4, v36
	v_and_b32_e32 v20, 0xff, v52
	s_clause 0x1
	global_load_dwordx4 v[28:31], v[93:94], off
	global_load_dwordx4 v[208:211], v[93:94], off offset:16
	v_mul_lo_u16 v20, 0xf1, v20
	v_lshrrev_b16 v20, 12, v20
	v_mul_lo_u16 v20, v20, 17
	v_sub_nc_u16 v20, v52, v20
	v_and_b32_e32 v34, 0xff, v20
	v_mad_u64_u32 v[32:33], null, v34, 48, s[2:3]
	s_clause 0x3
	global_load_dwordx4 v[240:243], v[93:94], off offset:32
	global_load_dwordx4 v[216:219], v[32:33], off
	global_load_dwordx4 v[212:215], v[32:33], off offset:16
	global_load_dwordx4 v[220:223], v[32:33], off offset:32
	buffer_load_dword v37, off, s[60:63], 0 offset:4 ; 4-byte Folded Reload
	v_lshlrev_b32_e32 v32, 5, v36
	v_sub_co_u32 v93, s0, v93, v35
	v_subrev_co_ci_u32_e64 v94, s0, 0, v94, s0
	v_add_nc_u32_e32 v33, 0x220, v32
	v_add_nc_u32_e32 v32, 0x660, v32
	s_mov_b32 s0, 0xe8584caa
	s_mov_b32 s1, 0x3febb67a
	s_waitcnt vmcnt(0)
	v_add_lshl_u32 v141, v37, v36, 4
	v_add_lshl_u32 v132, v37, v34, 4
	v_lshlrev_b32_e32 v34, 5, v52
	ds_read_b128 v[44:47], v141 offset:816
	ds_read_b128 v[48:51], v141 offset:1632
	;; [unrolled: 1-line block ×10, first 2 shown]
	ds_read_b128 v[85:88], v141
	ds_read_b128 v[89:92], v141 offset:272
	s_waitcnt lgkmcnt(0)
	s_barrier
	buffer_gl0_inv
	v_mul_f64 v[95:96], v[46:47], v[30:31]
	v_mul_f64 v[97:98], v[44:45], v[30:31]
	;; [unrolled: 1-line block ×18, first 2 shown]
	v_fma_f64 v[44:45], v[44:45], v[28:29], -v[95:96]
	v_fma_f64 v[46:47], v[46:47], v[28:29], v[97:98]
	v_fma_f64 v[48:49], v[48:49], v[208:209], -v[99:100]
	v_fma_f64 v[50:51], v[50:51], v[208:209], v[101:102]
	;; [unrolled: 2-line block ×9, first 2 shown]
	v_add_f64 v[95:96], v[85:86], -v[48:49]
	v_add_f64 v[97:98], v[87:88], -v[50:51]
	;; [unrolled: 1-line block ×12, first 2 shown]
	v_fma_f64 v[77:78], v[85:86], 2.0, -v[95:96]
	v_fma_f64 v[79:80], v[87:88], 2.0, -v[97:98]
	v_fma_f64 v[65:66], v[44:45], 2.0, -v[48:49]
	v_fma_f64 v[67:68], v[46:47], 2.0, -v[50:51]
	v_add_f64 v[44:45], v[95:96], -v[50:51]
	v_add_f64 v[46:47], v[97:98], v[48:49]
	v_fma_f64 v[85:86], v[89:90], 2.0, -v[99:100]
	v_fma_f64 v[87:88], v[91:92], 2.0, -v[101:102]
	v_fma_f64 v[57:58], v[57:58], 2.0, -v[53:54]
	v_fma_f64 v[59:60], v[59:60], 2.0, -v[55:56]
	v_add_f64 v[48:49], v[99:100], -v[55:56]
	v_add_f64 v[50:51], v[101:102], v[53:54]
	;; [unrolled: 6-line block ×3, first 2 shown]
	v_add_f64 v[53:54], v[77:78], -v[65:66]
	v_add_f64 v[55:56], v[79:80], -v[67:68]
	;; [unrolled: 1-line block ×4, first 2 shown]
	v_fma_f64 v[73:74], v[99:100], 2.0, -v[48:49]
	v_fma_f64 v[75:76], v[101:102], 2.0, -v[50:51]
	v_add_f64 v[65:66], v[89:90], -v[69:70]
	v_add_f64 v[67:68], v[91:92], -v[71:72]
	v_fma_f64 v[69:70], v[95:96], 2.0, -v[44:45]
	v_fma_f64 v[71:72], v[97:98], 2.0, -v[46:47]
	;; [unrolled: 1-line block ×10, first 2 shown]
	ds_write_b128 v141, v[44:47] offset:816
	ds_write_b128 v141, v[48:51] offset:1904
	ds_write_b128 v141, v[69:72] offset:272
	ds_write_b128 v141, v[53:56] offset:544
	ds_write_b128 v141, v[73:76] offset:1360
	ds_write_b128 v141, v[57:60] offset:1632
	ds_write_b128 v141, v[77:80]
	ds_write_b128 v141, v[81:84] offset:1088
	ds_write_b128 v132, v[61:64] offset:2992
	;; [unrolled: 1-line block ×5, first 2 shown]
	s_waitcnt lgkmcnt(0)
	s_barrier
	buffer_gl0_inv
	s_clause 0x7
	global_load_dwordx4 v[68:71], v[93:94], off offset:816
	global_load_dwordx4 v[64:67], v[93:94], off offset:832
	global_load_dwordx4 v[224:227], v33, s[2:3] offset:816
	global_load_dwordx4 v[72:75], v33, s[2:3] offset:832
	;; [unrolled: 1-line block ×6, first 2 shown]
	ds_read_b128 v[76:79], v141 offset:1088
	ds_read_b128 v[80:83], v141 offset:2176
	;; [unrolled: 1-line block ×8, first 2 shown]
	s_mov_b32 s3, 0xbfebb67a
	s_mov_b32 s2, s0
	s_waitcnt vmcnt(3) lgkmcnt(3)
	v_mul_f64 v[124:125], v[94:95], v[234:235]
	v_mul_f64 v[108:109], v[78:79], v[70:71]
	;; [unrolled: 1-line block ×10, first 2 shown]
	s_waitcnt vmcnt(2) lgkmcnt(2)
	v_mul_f64 v[128:129], v[98:99], v[230:231]
	v_mul_f64 v[130:131], v[96:97], v[230:231]
	s_waitcnt vmcnt(1) lgkmcnt(1)
	v_mul_f64 v[133:134], v[102:103], v[246:247]
	s_waitcnt vmcnt(0) lgkmcnt(0)
	v_mul_f64 v[135:136], v[106:107], v[238:239]
	v_mul_f64 v[137:138], v[100:101], v[246:247]
	;; [unrolled: 1-line block ×3, first 2 shown]
	v_fma_f64 v[92:93], v[92:93], v[232:233], -v[124:125]
	v_fma_f64 v[108:109], v[76:77], v[68:69], -v[108:109]
	v_fma_f64 v[110:111], v[78:79], v[68:69], v[110:111]
	v_fma_f64 v[112:113], v[80:81], v[64:65], -v[112:113]
	v_fma_f64 v[114:115], v[82:83], v[64:65], v[114:115]
	v_fma_f64 v[116:117], v[84:85], v[224:225], -v[116:117]
	v_fma_f64 v[118:119], v[86:87], v[224:225], v[118:119]
	v_fma_f64 v[120:121], v[88:89], v[72:73], -v[120:121]
	v_fma_f64 v[122:123], v[90:91], v[72:73], v[122:123]
	ds_read_b128 v[76:79], v141
	ds_read_b128 v[80:83], v141 offset:272
	ds_read_b128 v[84:87], v141 offset:544
	;; [unrolled: 1-line block ×3, first 2 shown]
	buffer_load_dword v32, off, s[60:63], 0 offset:8 ; 4-byte Folded Reload
	v_fma_f64 v[94:95], v[94:95], v[232:233], v[126:127]
	v_fma_f64 v[96:97], v[96:97], v[228:229], -v[128:129]
	v_fma_f64 v[98:99], v[98:99], v[228:229], v[130:131]
	v_fma_f64 v[100:101], v[100:101], v[244:245], -v[133:134]
	v_fma_f64 v[104:105], v[104:105], v[236:237], -v[135:136]
	v_fma_f64 v[102:103], v[102:103], v[244:245], v[137:138]
	v_fma_f64 v[106:107], v[106:107], v[236:237], v[139:140]
	v_add_f64 v[124:125], v[108:109], v[112:113]
	v_add_f64 v[126:127], v[110:111], v[114:115]
	v_add_f64 v[139:140], v[110:111], -v[114:115]
	s_waitcnt lgkmcnt(2)
	v_add_f64 v[148:149], v[80:81], v[116:117]
	v_add_f64 v[128:129], v[116:117], v[120:121]
	;; [unrolled: 1-line block ×5, first 2 shown]
	v_add_f64 v[108:109], v[108:109], -v[112:113]
	v_add_f64 v[150:151], v[82:83], v[118:119]
	v_add_f64 v[133:134], v[92:93], v[96:97]
	;; [unrolled: 1-line block ×3, first 2 shown]
	s_waitcnt lgkmcnt(1)
	v_add_f64 v[152:153], v[84:85], v[92:93]
	v_add_f64 v[144:145], v[100:101], v[104:105]
	;; [unrolled: 1-line block ×4, first 2 shown]
	s_waitcnt lgkmcnt(0)
	v_add_f64 v[156:157], v[88:89], v[100:101]
	v_add_f64 v[158:159], v[90:91], v[102:103]
	v_add_f64 v[160:161], v[118:119], -v[122:123]
	v_add_f64 v[162:163], v[116:117], -v[120:121]
	;; [unrolled: 1-line block ×4, first 2 shown]
	v_fma_f64 v[124:125], v[124:125], -0.5, v[76:77]
	v_fma_f64 v[126:127], v[126:127], -0.5, v[78:79]
	v_add_f64 v[168:169], v[102:103], -v[106:107]
	v_add_f64 v[170:171], v[100:101], -v[104:105]
	v_fma_f64 v[128:129], v[128:129], -0.5, v[80:81]
	v_fma_f64 v[130:131], v[130:131], -0.5, v[82:83]
	v_add_f64 v[76:77], v[135:136], v[112:113]
	v_add_f64 v[78:79], v[110:111], v[114:115]
	v_fma_f64 v[133:134], v[133:134], -0.5, v[84:85]
	v_fma_f64 v[137:138], v[137:138], -0.5, v[86:87]
	v_add_f64 v[100:101], v[152:153], v[96:97]
	v_fma_f64 v[144:145], v[144:145], -0.5, v[88:89]
	v_add_f64 v[88:89], v[148:149], v[120:121]
	;; [unrolled: 2-line block ×3, first 2 shown]
	v_add_f64 v[102:103], v[154:155], v[98:99]
	v_add_f64 v[116:117], v[156:157], v[104:105]
	;; [unrolled: 1-line block ×3, first 2 shown]
	v_fma_f64 v[80:81], v[139:140], s[0:1], v[124:125]
	v_fma_f64 v[84:85], v[139:140], s[2:3], v[124:125]
	;; [unrolled: 1-line block ×16, first 2 shown]
	s_waitcnt vmcnt(0)
	v_lshl_add_u32 v142, v36, 4, v32
	v_add_nc_u32_e32 v133, v35, v32
	ds_write_b128 v142, v[76:79]
	ds_write_b128 v142, v[88:91] offset:272
	ds_write_b128 v142, v[100:103] offset:544
	;; [unrolled: 1-line block ×11, first 2 shown]
	s_waitcnt lgkmcnt(0)
	s_barrier
	buffer_gl0_inv
	s_and_saveexec_b32 s2, vcc_lo
	s_cbranch_execz .LBB0_9
; %bb.8:
	buffer_load_dword v32, off, s[60:63], 0 ; 4-byte Folded Reload
	s_add_u32 s0, s12, 0xcc0
	s_addc_u32 s1, s13, 0
	s_waitcnt vmcnt(0)
	v_lshlrev_b32_e32 v33, 4, v32
	s_clause 0xa
	global_load_dwordx4 v[124:127], v33, s[0:1]
	global_load_dwordx4 v[128:131], v33, s[0:1] offset:192
	global_load_dwordx4 v[134:137], v33, s[0:1] offset:384
	;; [unrolled: 1-line block ×10, first 2 shown]
	v_or_b32_e32 v32, 0x900, v33
	global_load_dwordx4 v[176:179], v32, s[0:1]
	ds_read_b128 v[180:183], v142
	ds_read_b128 v[184:187], v142 offset:192
	ds_read_b128 v[188:191], v142 offset:384
	;; [unrolled: 1-line block ×3, first 2 shown]
	v_or_b32_e32 v32, 0xc00, v33
	s_waitcnt vmcnt(11) lgkmcnt(3)
	v_mul_f64 v[138:139], v[182:183], v[126:127]
	v_mul_f64 v[126:127], v[180:181], v[126:127]
	s_waitcnt vmcnt(10) lgkmcnt(2)
	v_mul_f64 v[196:197], v[186:187], v[130:131]
	v_mul_f64 v[130:131], v[184:185], v[130:131]
	;; [unrolled: 3-line block ×3, first 2 shown]
	v_fma_f64 v[180:181], v[180:181], v[124:125], -v[138:139]
	v_fma_f64 v[182:183], v[182:183], v[124:125], v[126:127]
	ds_read_b128 v[124:127], v142 offset:768
	v_fma_f64 v[136:137], v[184:185], v[128:129], -v[196:197]
	v_fma_f64 v[138:139], v[186:187], v[128:129], v[130:131]
	ds_read_b128 v[128:131], v142 offset:960
	s_waitcnt vmcnt(8) lgkmcnt(2)
	v_mul_f64 v[196:197], v[194:195], v[146:147]
	v_mul_f64 v[146:147], v[192:193], v[146:147]
	v_fma_f64 v[184:185], v[188:189], v[134:135], -v[198:199]
	v_fma_f64 v[186:187], v[190:191], v[134:135], v[200:201]
	ds_read_b128 v[188:191], v142 offset:1152
	s_waitcnt vmcnt(7) lgkmcnt(2)
	v_mul_f64 v[134:135], v[126:127], v[150:151]
	v_mul_f64 v[150:151], v[124:125], v[150:151]
	;; [unrolled: 6-line block ×3, first 2 shown]
	v_fma_f64 v[124:125], v[124:125], v[148:149], -v[134:135]
	s_waitcnt vmcnt(5) lgkmcnt(1)
	v_mul_f64 v[134:135], v[190:191], v[158:159]
	v_fma_f64 v[126:127], v[126:127], v[148:149], v[150:151]
	v_mul_f64 v[158:159], v[188:189], v[158:159]
	ds_read_b128 v[148:151], v142 offset:1536
	v_fma_f64 v[128:129], v[128:129], v[152:153], -v[196:197]
	v_fma_f64 v[130:131], v[130:131], v[152:153], v[154:155]
	ds_read_b128 v[152:155], v142 offset:1728
	s_waitcnt vmcnt(4) lgkmcnt(2)
	v_mul_f64 v[196:197], v[146:147], v[162:163]
	v_mul_f64 v[162:163], v[144:145], v[162:163]
	v_fma_f64 v[188:189], v[188:189], v[156:157], -v[134:135]
	s_waitcnt vmcnt(3) lgkmcnt(1)
	v_mul_f64 v[134:135], v[150:151], v[166:167]
	v_fma_f64 v[190:191], v[190:191], v[156:157], v[158:159]
	v_mul_f64 v[166:167], v[148:149], v[166:167]
	ds_read_b128 v[156:159], v142 offset:1920
	v_fma_f64 v[144:145], v[144:145], v[160:161], -v[196:197]
	v_fma_f64 v[146:147], v[146:147], v[160:161], v[162:163]
	ds_read_b128 v[160:163], v142 offset:2112
	s_waitcnt vmcnt(2) lgkmcnt(2)
	v_mul_f64 v[196:197], v[154:155], v[170:171]
	v_mul_f64 v[170:171], v[152:153], v[170:171]
	v_fma_f64 v[148:149], v[148:149], v[164:165], -v[134:135]
	s_waitcnt vmcnt(1) lgkmcnt(1)
	v_mul_f64 v[134:135], v[158:159], v[174:175]
	v_mul_f64 v[174:175], v[156:157], v[174:175]
	v_fma_f64 v[150:151], v[150:151], v[164:165], v[166:167]
	ds_read_b128 v[164:167], v142 offset:2304
	v_fma_f64 v[152:153], v[152:153], v[168:169], -v[196:197]
	v_fma_f64 v[154:155], v[154:155], v[168:169], v[170:171]
	ds_read_b128 v[168:171], v142 offset:2496
	global_load_dwordx4 v[196:199], v32, s[0:1]
	v_add_co_u32 v32, s0, s0, v33
	v_add_co_ci_u32_e64 v33, null, s1, 0, s0
	v_add_co_u32 v200, s0, 0x800, v32
	v_fma_f64 v[156:157], v[156:157], v[172:173], -v[134:135]
	v_fma_f64 v[158:159], v[158:159], v[172:173], v[174:175]
	s_waitcnt vmcnt(1) lgkmcnt(1)
	v_mul_f64 v[134:135], v[166:167], v[178:179]
	v_mul_f64 v[172:173], v[164:165], v[178:179]
	v_add_co_ci_u32_e64 v201, s0, 0, v33, s0
	v_fma_f64 v[164:165], v[164:165], v[176:177], -v[134:135]
	v_fma_f64 v[166:167], v[166:167], v[176:177], v[172:173]
	s_clause 0x1
	global_load_dwordx4 v[172:175], v[200:201], off offset:64
	global_load_dwordx4 v[176:179], v[200:201], off offset:448
	s_waitcnt vmcnt(1)
	v_mul_f64 v[134:135], v[162:163], v[174:175]
	v_mul_f64 v[174:175], v[160:161], v[174:175]
	v_fma_f64 v[160:161], v[160:161], v[172:173], -v[134:135]
	v_fma_f64 v[162:163], v[162:163], v[172:173], v[174:175]
	s_waitcnt vmcnt(0) lgkmcnt(0)
	v_mul_f64 v[134:135], v[170:171], v[178:179]
	v_mul_f64 v[172:173], v[168:169], v[178:179]
	v_fma_f64 v[168:169], v[168:169], v[176:177], -v[134:135]
	v_fma_f64 v[170:171], v[170:171], v[176:177], v[172:173]
	s_clause 0x1
	global_load_dwordx4 v[172:175], v[200:201], off offset:640
	global_load_dwordx4 v[176:179], v[200:201], off offset:832
	ds_read_b128 v[200:203], v142 offset:2688
	ds_read_b128 v[204:207], v142 offset:2880
	s_waitcnt vmcnt(1) lgkmcnt(1)
	v_mul_f64 v[134:135], v[202:203], v[174:175]
	v_mul_f64 v[174:175], v[200:201], v[174:175]
	v_fma_f64 v[200:201], v[200:201], v[172:173], -v[134:135]
	v_fma_f64 v[202:203], v[202:203], v[172:173], v[174:175]
	s_waitcnt vmcnt(0) lgkmcnt(0)
	v_mul_f64 v[134:135], v[206:207], v[178:179]
	v_mul_f64 v[174:175], v[204:205], v[178:179]
	v_fma_f64 v[172:173], v[204:205], v[176:177], -v[134:135]
	v_fma_f64 v[174:175], v[206:207], v[176:177], v[174:175]
	ds_read_b128 v[176:179], v142 offset:3072
	s_waitcnt lgkmcnt(0)
	v_mul_f64 v[134:135], v[178:179], v[198:199]
	v_mul_f64 v[198:199], v[176:177], v[198:199]
	v_fma_f64 v[176:177], v[176:177], v[196:197], -v[134:135]
	v_fma_f64 v[178:179], v[178:179], v[196:197], v[198:199]
	ds_write_b128 v142, v[180:183]
	ds_write_b128 v142, v[136:139] offset:192
	ds_write_b128 v142, v[184:187] offset:384
	;; [unrolled: 1-line block ×16, first 2 shown]
.LBB0_9:
	s_or_b32 exec_lo, exec_lo, s2
	s_waitcnt lgkmcnt(0)
	s_barrier
	buffer_gl0_inv
	s_and_saveexec_b32 s0, vcc_lo
	s_cbranch_execz .LBB0_11
; %bb.10:
	ds_read_b128 v[76:79], v142
	ds_read_b128 v[80:83], v142 offset:192
	ds_read_b128 v[84:87], v142 offset:384
	;; [unrolled: 1-line block ×15, first 2 shown]
	s_waitcnt lgkmcnt(0)
	buffer_store_dword v0, off, s[60:63], 0 offset:20 ; 4-byte Folded Spill
	buffer_store_dword v1, off, s[60:63], 0 offset:24 ; 4-byte Folded Spill
	buffer_store_dword v2, off, s[60:63], 0 offset:28 ; 4-byte Folded Spill
	buffer_store_dword v3, off, s[60:63], 0 offset:32 ; 4-byte Folded Spill
	ds_read_b128 v[0:3], v142 offset:3072
.LBB0_11:
	s_or_b32 exec_lo, exec_lo, s0
	v_add_nc_u32_e32 v125, 0x220, v133
	v_add_nc_u32_e32 v124, 0x330, v133
	s_waitcnt lgkmcnt(0)
	s_waitcnt_vscnt null, 0x0
	s_barrier
	buffer_gl0_inv
	s_and_saveexec_b32 s33, vcc_lo
	s_cbranch_execz .LBB0_13
; %bb.12:
	buffer_store_dword v124, off, s[60:63], 0 offset:48 ; 4-byte Folded Spill
	buffer_store_dword v125, off, s[60:63], 0 offset:56 ; 4-byte Folded Spill
	s_clause 0x3
	buffer_load_dword v4, off, s[60:63], 0 offset:20
	buffer_load_dword v5, off, s[60:63], 0 offset:24
	;; [unrolled: 1-line block ×4, first 2 shown]
	v_add_f64 v[126:127], v[76:77], v[80:81]
	v_add_f64 v[124:125], v[78:79], v[82:83]
	v_add_f64 v[135:136], v[88:89], -v[8:9]
	v_add_f64 v[150:151], v[80:81], -v[0:1]
	s_mov_b32 s24, 0xacd6c6b4
	s_mov_b32 s25, 0xbfc7851a
	v_add_f64 v[154:155], v[2:3], v[82:83]
	s_mov_b32 s34, 0x5d8e7cdc
	s_mov_b32 s0, 0x7faef3
	;; [unrolled: 1-line block ×4, first 2 shown]
	v_add_f64 v[152:153], v[82:83], -v[2:3]
	v_add_f64 v[156:157], v[0:1], v[80:81]
	s_mov_b32 s8, 0x370991
	s_mov_b32 s9, 0x3fedd6d0
	;; [unrolled: 1-line block ×9, first 2 shown]
	v_add_f64 v[126:127], v[84:85], v[126:127]
	v_add_f64 v[124:125], v[86:87], v[124:125]
	s_mov_b32 s17, 0x3fe7a5f6
	s_mov_b32 s26, 0x6c9a05f6
	;; [unrolled: 1-line block ×20, first 2 shown]
	v_add_f64 v[126:127], v[88:89], v[126:127]
	v_add_f64 v[124:125], v[90:91], v[124:125]
	;; [unrolled: 1-line block ×3, first 2 shown]
	s_mov_b32 s40, s26
	s_mov_b32 s39, 0xbfd71e95
	;; [unrolled: 1-line block ×9, first 2 shown]
	v_mov_b32_e32 v143, v255
	v_mul_f64 v[44:45], v[135:136], s[48:49]
	v_mov_b32_e32 v24, v68
	v_mov_b32_e32 v25, v69
	v_mov_b32_e32 v26, v70
	v_mov_b32_e32 v27, v71
	v_mov_b32_e32 v20, v64
	v_mov_b32_e32 v21, v65
	v_mov_b32_e32 v22, v66
	v_mov_b32_e32 v23, v67
	v_add_f64 v[126:127], v[92:93], v[126:127]
	v_add_f64 v[124:125], v[94:95], v[124:125]
	v_add_f64 v[126:127], v[96:97], v[126:127]
	v_add_f64 v[124:125], v[98:99], v[124:125]
	v_add_f64 v[126:127], v[100:101], v[126:127]
	v_add_f64 v[124:125], v[102:103], v[124:125]
	v_add_f64 v[126:127], v[104:105], v[126:127]
	v_add_f64 v[124:125], v[106:107], v[124:125]
	v_add_f64 v[130:131], v[120:121], v[126:127]
	v_add_f64 v[128:129], v[122:123], v[124:125]
	v_add_f64 v[126:127], v[120:121], -v[116:117]
	v_add_f64 v[124:125], v[122:123], v[118:119]
	v_add_f64 v[122:123], v[122:123], -v[118:119]
	v_add_f64 v[120:121], v[120:121], v[116:117]
	v_add_f64 v[130:131], v[116:117], v[130:131]
	;; [unrolled: 1-line block ×3, first 2 shown]
	v_add_f64 v[118:119], v[104:105], -v[112:113]
	v_add_f64 v[116:117], v[106:107], -v[114:115]
	v_add_f64 v[106:107], v[106:107], v[114:115]
	v_add_f64 v[104:105], v[104:105], v[112:113]
	v_mul_f64 v[168:169], v[126:127], s[30:31]
	v_mul_f64 v[170:171], v[122:123], s[30:31]
	;; [unrolled: 1-line block ×8, first 2 shown]
	v_add_f64 v[130:131], v[112:113], v[130:131]
	v_add_f64 v[133:134], v[114:115], v[128:129]
	v_add_f64 v[128:129], v[100:101], -v[108:109]
	v_add_f64 v[112:113], v[110:111], v[102:103]
	v_add_f64 v[114:115], v[102:103], -v[110:111]
	v_add_f64 v[100:101], v[108:109], v[100:101]
	v_add_f64 v[102:103], v[18:19], v[98:99]
	v_add_f64 v[98:99], v[98:99], -v[18:19]
	v_mul_f64 v[36:37], v[118:119], s[44:45]
	v_mul_f64 v[60:61], v[118:119], s[40:41]
	;; [unrolled: 1-line block ×3, first 2 shown]
	v_fma_f64 v[42:43], v[124:125], s[2:3], -v[40:41]
	v_fma_f64 v[70:71], v[124:125], s[16:17], -v[68:69]
	v_add_f64 v[130:131], v[108:109], v[130:131]
	v_add_f64 v[110:111], v[110:111], v[133:134]
	v_add_f64 v[108:109], v[96:97], -v[16:17]
	v_add_f64 v[96:97], v[16:17], v[96:97]
	v_add_f64 v[133:134], v[90:91], -v[10:11]
	v_add_f64 v[90:91], v[90:91], v[10:11]
	v_mul_f64 v[206:207], v[128:129], s[26:27]
	v_mul_f64 v[204:205], v[98:99], s[46:47]
	;; [unrolled: 1-line block ×3, first 2 shown]
	v_fma_f64 v[38:39], v[106:107], s[22:23], -v[36:37]
	v_mul_f64 v[56:57], v[128:129], s[36:37]
	v_fma_f64 v[62:63], v[106:107], s[10:11], -v[60:61]
	v_fma_f64 v[66:67], v[104:105], s[10:11], v[64:65]
	v_add_f64 v[16:17], v[16:17], v[130:131]
	v_add_f64 v[18:19], v[18:19], v[110:111]
	v_add_f64 v[130:131], v[92:93], -v[12:13]
	v_add_f64 v[92:93], v[92:93], v[12:13]
	v_add_f64 v[110:111], v[94:95], -v[14:15]
	v_add_f64 v[94:95], v[94:95], v[14:15]
	v_mul_f64 v[196:197], v[133:134], s[50:51]
	v_mul_f64 v[202:203], v[108:109], s[46:47]
	v_fma_f64 v[34:35], v[100:101], s[8:9], v[32:33]
	v_fma_f64 v[46:47], v[90:91], s[18:19], -v[44:45]
	v_mul_f64 v[52:53], v[108:109], s[50:51]
	v_fma_f64 v[58:59], v[112:113], s[2:3], -v[56:57]
	v_fma_f64 v[44:45], v[90:91], s[18:19], v[44:45]
	v_fma_f64 v[32:33], v[100:101], s[8:9], -v[32:33]
	v_add_f64 v[12:13], v[12:13], v[16:17]
	v_add_f64 v[14:15], v[14:15], v[18:19]
	v_mul_f64 v[198:199], v[130:131], s[44:45]
	v_mul_f64 v[48:49], v[130:131], s[34:35]
	;; [unrolled: 1-line block ×4, first 2 shown]
	v_fma_f64 v[54:55], v[102:103], s[20:21], -v[52:53]
	v_add_f64 v[8:9], v[8:9], v[12:13]
	v_add_f64 v[10:11], v[10:11], v[14:15]
	v_mul_f64 v[12:13], v[152:153], s[24:25]
	v_fma_f64 v[50:51], v[94:95], s[8:9], -v[48:49]
	s_waitcnt vmcnt(2)
	v_add_f64 v[139:140], v[84:85], -v[4:5]
	v_add_f64 v[84:85], v[4:5], v[84:85]
	v_add_f64 v[4:5], v[4:5], v[8:9]
	v_mul_f64 v[8:9], v[150:151], s[24:25]
	s_waitcnt vmcnt(0)
	v_add_f64 v[137:138], v[86:87], -v[6:7]
	v_add_f64 v[86:87], v[6:7], v[86:87]
	v_add_f64 v[6:7], v[6:7], v[10:11]
	v_mul_f64 v[10:11], v[139:140], s[34:35]
	v_add_f64 v[0:1], v[0:1], v[4:5]
	v_fma_f64 v[4:5], v[154:155], s[0:1], v[8:9]
	v_mul_f64 v[14:15], v[137:138], s[34:35]
	v_fma_f64 v[8:9], v[154:155], s[0:1], -v[8:9]
	v_add_f64 v[2:3], v[2:3], v[6:7]
	buffer_store_dword v0, off, s[60:63], 0 offset:20 ; 4-byte Folded Spill
	buffer_store_dword v1, off, s[60:63], 0 offset:24 ; 4-byte Folded Spill
	;; [unrolled: 1-line block ×4, first 2 shown]
	v_add_f64 v[4:5], v[78:79], v[4:5]
	v_fma_f64 v[6:7], v[86:87], s[8:9], v[10:11]
	v_fma_f64 v[16:17], v[84:85], s[8:9], -v[14:15]
	v_fma_f64 v[10:11], v[86:87], s[8:9], -v[10:11]
	v_add_f64 v[8:9], v[78:79], v[8:9]
	v_add_f64 v[4:5], v[6:7], v[4:5]
	v_fma_f64 v[6:7], v[156:157], s[0:1], -v[12:13]
	v_add_f64 v[8:9], v[10:11], v[8:9]
	v_fma_f64 v[10:11], v[156:157], s[0:1], v[12:13]
	v_fma_f64 v[12:13], v[84:85], s[8:9], v[14:15]
	;; [unrolled: 1-line block ×3, first 2 shown]
	v_add_f64 v[6:7], v[76:77], v[6:7]
	v_add_f64 v[10:11], v[76:77], v[10:11]
	;; [unrolled: 1-line block ×3, first 2 shown]
	v_mul_f64 v[16:17], v[135:136], s[36:37]
	v_add_f64 v[10:11], v[12:13], v[10:11]
	v_fma_f64 v[18:19], v[90:91], s[2:3], v[16:17]
	v_fma_f64 v[12:13], v[90:91], s[2:3], -v[16:17]
	v_mul_f64 v[16:17], v[150:151], s[36:37]
	v_add_f64 v[4:5], v[18:19], v[4:5]
	v_mul_f64 v[18:19], v[133:134], s[36:37]
	v_add_f64 v[8:9], v[12:13], v[8:9]
	v_fma_f64 v[80:81], v[88:89], s[2:3], -v[18:19]
	v_fma_f64 v[12:13], v[88:89], s[2:3], v[18:19]
	v_mul_f64 v[18:19], v[139:140], s[42:43]
	v_add_f64 v[6:7], v[80:81], v[6:7]
	v_mul_f64 v[80:81], v[130:131], s[28:29]
	v_add_f64 v[10:11], v[12:13], v[10:11]
	v_fma_f64 v[82:83], v[94:95], s[16:17], v[80:81]
	v_fma_f64 v[12:13], v[94:95], s[16:17], -v[80:81]
	v_mul_f64 v[80:81], v[152:153], s[36:37]
	v_add_f64 v[4:5], v[82:83], v[4:5]
	v_mul_f64 v[82:83], v[110:111], s[28:29]
	v_add_f64 v[8:9], v[12:13], v[8:9]
	v_fma_f64 v[146:147], v[92:93], s[16:17], -v[82:83]
	v_fma_f64 v[12:13], v[92:93], s[16:17], v[82:83]
	v_mul_f64 v[82:83], v[137:138], s[42:43]
	v_add_f64 v[6:7], v[146:147], v[6:7]
	v_mul_f64 v[146:147], v[108:109], s[26:27]
	v_add_f64 v[10:11], v[12:13], v[10:11]
	v_fma_f64 v[148:149], v[102:103], s[10:11], v[146:147]
	v_fma_f64 v[12:13], v[102:103], s[10:11], -v[146:147]
	v_fma_f64 v[146:147], v[84:85], s[20:21], -v[82:83]
	v_add_f64 v[4:5], v[148:149], v[4:5]
	v_mul_f64 v[148:149], v[98:99], s[26:27]
	v_add_f64 v[8:9], v[12:13], v[8:9]
	v_fma_f64 v[158:159], v[96:97], s[10:11], -v[148:149]
	v_fma_f64 v[12:13], v[96:97], s[10:11], v[148:149]
	v_add_f64 v[6:7], v[158:159], v[6:7]
	v_mul_f64 v[158:159], v[128:129], s[42:43]
	v_add_f64 v[10:11], v[12:13], v[10:11]
	v_fma_f64 v[160:161], v[112:113], s[20:21], v[158:159]
	v_fma_f64 v[12:13], v[112:113], s[20:21], -v[158:159]
	v_add_f64 v[4:5], v[160:161], v[4:5]
	v_mul_f64 v[160:161], v[114:115], s[42:43]
	v_add_f64 v[8:9], v[12:13], v[8:9]
	v_fma_f64 v[162:163], v[100:101], s[20:21], -v[160:161]
	v_fma_f64 v[12:13], v[100:101], s[20:21], v[160:161]
	v_add_f64 v[6:7], v[162:163], v[6:7]
	v_mul_f64 v[162:163], v[118:119], s[46:47]
	v_add_f64 v[10:11], v[12:13], v[10:11]
	v_fma_f64 v[164:165], v[106:107], s[18:19], v[162:163]
	v_fma_f64 v[12:13], v[106:107], s[18:19], -v[162:163]
	v_add_f64 v[4:5], v[164:165], v[4:5]
	v_mul_f64 v[164:165], v[116:117], s[46:47]
	v_add_f64 v[8:9], v[12:13], v[8:9]
	v_fma_f64 v[166:167], v[104:105], s[18:19], -v[164:165]
	v_fma_f64 v[12:13], v[104:105], s[18:19], v[164:165]
	v_add_f64 v[166:167], v[166:167], v[6:7]
	v_fma_f64 v[6:7], v[124:125], s[22:23], v[168:169]
	v_add_f64 v[12:13], v[12:13], v[10:11]
	v_fma_f64 v[10:11], v[124:125], s[22:23], -v[168:169]
	v_add_f64 v[2:3], v[6:7], v[4:5]
	v_fma_f64 v[4:5], v[120:121], s[22:23], -v[170:171]
	v_add_f64 v[0:1], v[4:5], v[166:167]
	buffer_store_dword v0, off, s[60:63], 0 offset:64 ; 4-byte Folded Spill
	buffer_store_dword v1, off, s[60:63], 0 offset:68 ; 4-byte Folded Spill
	;; [unrolled: 1-line block ×4, first 2 shown]
	v_add_f64 v[0:1], v[14:15], v[12:13]
	v_fma_f64 v[12:13], v[154:155], s[2:3], v[16:17]
	v_fma_f64 v[14:15], v[86:87], s[20:21], v[18:19]
	v_fma_f64 v[16:17], v[154:155], s[2:3], -v[16:17]
	v_fma_f64 v[18:19], v[86:87], s[20:21], -v[18:19]
	v_add_f64 v[2:3], v[10:11], v[8:9]
	buffer_store_dword v0, off, s[60:63], 0 offset:80 ; 4-byte Folded Spill
	buffer_store_dword v1, off, s[60:63], 0 offset:84 ; 4-byte Folded Spill
	;; [unrolled: 1-line block ×4, first 2 shown]
	v_add_f64 v[12:13], v[78:79], v[12:13]
	v_add_f64 v[16:17], v[78:79], v[16:17]
	v_mov_b32_e32 v8, v232
	v_mov_b32_e32 v9, v233
	;; [unrolled: 1-line block ×8, first 2 shown]
	v_add_f64 v[12:13], v[14:15], v[12:13]
	v_fma_f64 v[14:15], v[156:157], s[2:3], -v[80:81]
	v_add_f64 v[16:17], v[18:19], v[16:17]
	v_fma_f64 v[18:19], v[156:157], s[2:3], v[80:81]
	v_fma_f64 v[80:81], v[84:85], s[20:21], v[82:83]
	;; [unrolled: 1-line block ×3, first 2 shown]
	v_add_f64 v[14:15], v[76:77], v[14:15]
	v_add_f64 v[18:19], v[76:77], v[18:19]
	;; [unrolled: 1-line block ×3, first 2 shown]
	v_mul_f64 v[146:147], v[135:136], s[44:45]
	v_add_f64 v[18:19], v[80:81], v[18:19]
	v_fma_f64 v[148:149], v[90:91], s[22:23], v[146:147]
	v_fma_f64 v[80:81], v[90:91], s[22:23], -v[146:147]
	v_mul_f64 v[146:147], v[150:151], s[26:27]
	v_add_f64 v[12:13], v[148:149], v[12:13]
	v_mul_f64 v[148:149], v[133:134], s[44:45]
	v_add_f64 v[16:17], v[80:81], v[16:17]
	v_fma_f64 v[158:159], v[88:89], s[22:23], -v[148:149]
	v_fma_f64 v[80:81], v[88:89], s[22:23], v[148:149]
	v_mul_f64 v[148:149], v[139:140], s[48:49]
	v_add_f64 v[14:15], v[158:159], v[14:15]
	v_mul_f64 v[158:159], v[130:131], s[40:41]
	v_add_f64 v[18:19], v[80:81], v[18:19]
	v_fma_f64 v[160:161], v[94:95], s[10:11], v[158:159]
	v_fma_f64 v[80:81], v[94:95], s[10:11], -v[158:159]
	v_mul_f64 v[158:159], v[152:153], s[26:27]
	v_add_f64 v[12:13], v[160:161], v[12:13]
	v_mul_f64 v[160:161], v[110:111], s[40:41]
	v_add_f64 v[16:17], v[80:81], v[16:17]
	v_fma_f64 v[162:163], v[92:93], s[10:11], -v[160:161]
	v_fma_f64 v[80:81], v[92:93], s[10:11], v[160:161]
	v_mul_f64 v[160:161], v[137:138], s[48:49]
	v_add_f64 v[14:15], v[162:163], v[14:15]
	v_mul_f64 v[162:163], v[108:109], s[38:39]
	v_add_f64 v[18:19], v[80:81], v[18:19]
	v_fma_f64 v[164:165], v[102:103], s[8:9], v[162:163]
	v_fma_f64 v[80:81], v[102:103], s[8:9], -v[162:163]
	v_fma_f64 v[162:163], v[84:85], s[18:19], -v[160:161]
	v_add_f64 v[12:13], v[164:165], v[12:13]
	v_mul_f64 v[164:165], v[98:99], s[38:39]
	v_add_f64 v[16:17], v[80:81], v[16:17]
	v_fma_f64 v[166:167], v[96:97], s[8:9], -v[164:165]
	v_fma_f64 v[80:81], v[96:97], s[8:9], v[164:165]
	v_add_f64 v[14:15], v[166:167], v[14:15]
	v_mul_f64 v[166:167], v[128:129], s[24:25]
	v_add_f64 v[18:19], v[80:81], v[18:19]
	v_fma_f64 v[168:169], v[112:113], s[0:1], v[166:167]
	v_fma_f64 v[80:81], v[112:113], s[0:1], -v[166:167]
	v_add_f64 v[12:13], v[168:169], v[12:13]
	v_mul_f64 v[168:169], v[114:115], s[24:25]
	v_add_f64 v[16:17], v[80:81], v[16:17]
	v_fma_f64 v[170:171], v[100:101], s[0:1], -v[168:169]
	v_fma_f64 v[80:81], v[100:101], s[0:1], v[168:169]
	v_add_f64 v[14:15], v[170:171], v[14:15]
	v_mul_f64 v[170:171], v[118:119], s[28:29]
	v_add_f64 v[18:19], v[80:81], v[18:19]
	v_fma_f64 v[172:173], v[106:107], s[16:17], v[170:171]
	v_fma_f64 v[80:81], v[106:107], s[16:17], -v[170:171]
	v_add_f64 v[12:13], v[172:173], v[12:13]
	v_mul_f64 v[172:173], v[116:117], s[28:29]
	v_add_f64 v[16:17], v[80:81], v[16:17]
	v_fma_f64 v[174:175], v[104:105], s[16:17], -v[172:173]
	v_fma_f64 v[80:81], v[104:105], s[16:17], v[172:173]
	v_add_f64 v[174:175], v[174:175], v[14:15]
	v_fma_f64 v[14:15], v[124:125], s[18:19], v[176:177]
	v_add_f64 v[80:81], v[80:81], v[18:19]
	v_fma_f64 v[18:19], v[124:125], s[18:19], -v[176:177]
	v_add_f64 v[2:3], v[14:15], v[12:13]
	v_fma_f64 v[12:13], v[120:121], s[18:19], -v[178:179]
	v_add_f64 v[0:1], v[12:13], v[174:175]
	buffer_store_dword v0, off, s[60:63], 0 offset:96 ; 4-byte Folded Spill
	buffer_store_dword v1, off, s[60:63], 0 offset:100 ; 4-byte Folded Spill
	;; [unrolled: 1-line block ×4, first 2 shown]
	v_add_f64 v[0:1], v[82:83], v[80:81]
	v_fma_f64 v[80:81], v[154:155], s[10:11], v[146:147]
	v_fma_f64 v[82:83], v[86:87], s[18:19], v[148:149]
	v_fma_f64 v[146:147], v[154:155], s[10:11], -v[146:147]
	v_fma_f64 v[148:149], v[86:87], s[18:19], -v[148:149]
	v_add_f64 v[2:3], v[18:19], v[16:17]
	buffer_store_dword v0, off, s[60:63], 0 offset:112 ; 4-byte Folded Spill
	buffer_store_dword v1, off, s[60:63], 0 offset:116 ; 4-byte Folded Spill
	;; [unrolled: 1-line block ×4, first 2 shown]
	v_add_f64 v[80:81], v[78:79], v[80:81]
	v_add_f64 v[146:147], v[78:79], v[146:147]
	v_mov_b32_e32 v16, v224
	v_mov_b32_e32 v17, v225
	;; [unrolled: 1-line block ×8, first 2 shown]
	v_add_f64 v[80:81], v[82:83], v[80:81]
	v_fma_f64 v[82:83], v[156:157], s[10:11], -v[158:159]
	v_add_f64 v[146:147], v[148:149], v[146:147]
	v_fma_f64 v[148:149], v[156:157], s[10:11], v[158:159]
	v_fma_f64 v[158:159], v[84:85], s[18:19], v[160:161]
	;; [unrolled: 1-line block ×3, first 2 shown]
	v_add_f64 v[82:83], v[76:77], v[82:83]
	v_add_f64 v[148:149], v[76:77], v[148:149]
	;; [unrolled: 1-line block ×3, first 2 shown]
	v_mul_f64 v[162:163], v[135:136], s[38:39]
	v_add_f64 v[148:149], v[158:159], v[148:149]
	v_fma_f64 v[164:165], v[90:91], s[8:9], v[162:163]
	v_fma_f64 v[158:159], v[90:91], s[8:9], -v[162:163]
	v_mul_f64 v[162:163], v[150:151], s[50:51]
	v_add_f64 v[80:81], v[164:165], v[80:81]
	v_mul_f64 v[164:165], v[133:134], s[38:39]
	v_add_f64 v[146:147], v[158:159], v[146:147]
	v_fma_f64 v[166:167], v[88:89], s[8:9], -v[164:165]
	v_fma_f64 v[158:159], v[88:89], s[8:9], v[164:165]
	v_mul_f64 v[164:165], v[150:151], s[52:53]
	v_add_f64 v[82:83], v[166:167], v[82:83]
	v_mul_f64 v[166:167], v[130:131], s[36:37]
	v_add_f64 v[148:149], v[158:159], v[148:149]
	v_fma_f64 v[168:169], v[94:95], s[2:3], v[166:167]
	v_fma_f64 v[158:159], v[94:95], s[2:3], -v[166:167]
	v_add_f64 v[80:81], v[168:169], v[80:81]
	v_mul_f64 v[168:169], v[110:111], s[36:37]
	v_add_f64 v[146:147], v[158:159], v[146:147]
	v_fma_f64 v[170:171], v[92:93], s[2:3], -v[168:169]
	v_fma_f64 v[158:159], v[92:93], s[2:3], v[168:169]
	v_add_f64 v[82:83], v[170:171], v[82:83]
	v_mul_f64 v[170:171], v[108:109], s[30:31]
	v_add_f64 v[148:149], v[158:159], v[148:149]
	v_fma_f64 v[172:173], v[102:103], s[22:23], v[170:171]
	v_fma_f64 v[158:159], v[102:103], s[22:23], -v[170:171]
	v_fma_f64 v[170:171], v[154:155], s[20:21], v[162:163]
	v_fma_f64 v[162:163], v[154:155], s[20:21], -v[162:163]
	v_add_f64 v[80:81], v[172:173], v[80:81]
	v_mul_f64 v[172:173], v[98:99], s[30:31]
	v_add_f64 v[146:147], v[158:159], v[146:147]
	v_fma_f64 v[174:175], v[96:97], s[22:23], -v[172:173]
	v_fma_f64 v[158:159], v[96:97], s[22:23], v[172:173]
	v_fma_f64 v[172:173], v[154:155], s[16:17], -v[164:165]
	v_fma_f64 v[164:165], v[154:155], s[16:17], v[164:165]
	v_add_f64 v[82:83], v[174:175], v[82:83]
	v_mul_f64 v[174:175], v[128:129], s[52:53]
	v_add_f64 v[148:149], v[158:159], v[148:149]
	v_fma_f64 v[176:177], v[112:113], s[16:17], v[174:175]
	v_fma_f64 v[158:159], v[112:113], s[16:17], -v[174:175]
	v_add_f64 v[80:81], v[176:177], v[80:81]
	v_mul_f64 v[176:177], v[114:115], s[52:53]
	v_add_f64 v[146:147], v[158:159], v[146:147]
	v_fma_f64 v[178:179], v[100:101], s[16:17], -v[176:177]
	v_fma_f64 v[158:159], v[100:101], s[16:17], v[176:177]
	v_mul_f64 v[176:177], v[152:153], s[44:45]
	v_add_f64 v[82:83], v[178:179], v[82:83]
	v_mul_f64 v[178:179], v[118:119], s[24:25]
	v_add_f64 v[148:149], v[158:159], v[148:149]
	v_fma_f64 v[180:181], v[106:107], s[0:1], v[178:179]
	v_fma_f64 v[158:159], v[106:107], s[0:1], -v[178:179]
	v_mul_f64 v[178:179], v[152:153], s[50:51]
	v_add_f64 v[80:81], v[180:181], v[80:81]
	v_mul_f64 v[180:181], v[116:117], s[24:25]
	v_add_f64 v[146:147], v[158:159], v[146:147]
	v_fma_f64 v[182:183], v[104:105], s[0:1], -v[180:181]
	v_fma_f64 v[158:159], v[104:105], s[0:1], v[180:181]
	v_mul_f64 v[180:181], v[152:153], s[52:53]
	v_add_f64 v[182:183], v[182:183], v[82:83]
	v_fma_f64 v[82:83], v[124:125], s[20:21], v[184:185]
	v_add_f64 v[158:159], v[158:159], v[148:149]
	v_fma_f64 v[148:149], v[124:125], s[20:21], -v[184:185]
	v_fma_f64 v[184:185], v[156:157], s[22:23], -v[176:177]
	v_fma_f64 v[188:189], v[156:157], s[16:17], v[180:181]
	v_fma_f64 v[180:181], v[156:157], s[16:17], -v[180:181]
	v_fma_f64 v[176:177], v[156:157], s[22:23], v[176:177]
	v_add_f64 v[2:3], v[82:83], v[80:81]
	v_fma_f64 v[80:81], v[120:121], s[20:21], -v[186:187]
	v_fma_f64 v[186:187], v[156:157], s[20:21], -v[178:179]
	v_fma_f64 v[178:179], v[156:157], s[20:21], v[178:179]
	v_mul_f64 v[82:83], v[126:127], s[34:35]
	v_add_f64 v[0:1], v[80:81], v[182:183]
	buffer_store_dword v0, off, s[60:63], 0 offset:128 ; 4-byte Folded Spill
	buffer_store_dword v1, off, s[60:63], 0 offset:132 ; 4-byte Folded Spill
	buffer_store_dword v2, off, s[60:63], 0 offset:136 ; 4-byte Folded Spill
	buffer_store_dword v3, off, s[60:63], 0 offset:140 ; 4-byte Folded Spill
	v_add_f64 v[0:1], v[160:161], v[158:159]
	v_mul_f64 v[158:159], v[150:151], s[46:47]
	v_mul_f64 v[160:161], v[150:151], s[44:45]
	;; [unrolled: 1-line block ×3, first 2 shown]
	v_add_f64 v[2:3], v[148:149], v[146:147]
	buffer_store_dword v0, off, s[60:63], 0 offset:144 ; 4-byte Folded Spill
	buffer_store_dword v1, off, s[60:63], 0 offset:148 ; 4-byte Folded Spill
	;; [unrolled: 1-line block ×4, first 2 shown]
	v_fma_f64 v[166:167], v[154:155], s[18:19], v[158:159]
	v_fma_f64 v[158:159], v[154:155], s[18:19], -v[158:159]
	v_fma_f64 v[168:169], v[154:155], s[22:23], v[160:161]
	v_fma_f64 v[160:161], v[154:155], s[22:23], -v[160:161]
	v_fma_f64 v[174:175], v[154:155], s[8:9], -v[150:151]
	v_fma_f64 v[150:151], v[154:155], s[8:9], v[150:151]
	v_mul_f64 v[154:155], v[152:153], s[46:47]
	v_mul_f64 v[152:153], v[152:153], s[38:39]
	v_add_f64 v[186:187], v[76:77], v[186:187]
	v_mov_b32_e32 v146, v220
	v_mov_b32_e32 v147, v221
	;; [unrolled: 1-line block ×4, first 2 shown]
	s_mov_b32 s47, 0x3fe0d888
	s_mov_b32 s46, s36
	v_add_f64 v[0:1], v[78:79], v[166:167]
	buffer_store_dword v0, off, s[60:63], 0 offset:216 ; 4-byte Folded Spill
	buffer_store_dword v1, off, s[60:63], 0 offset:220 ; 4-byte Folded Spill
	v_fma_f64 v[182:183], v[156:157], s[18:19], -v[154:155]
	v_fma_f64 v[154:155], v[156:157], s[18:19], v[154:155]
	v_fma_f64 v[190:191], v[156:157], s[8:9], v[152:153]
	v_fma_f64 v[152:153], v[156:157], s[8:9], -v[152:153]
	v_add_f64 v[192:193], v[78:79], v[158:159]
	v_add_f64 v[158:159], v[78:79], v[160:161]
	;; [unrolled: 1-line block ×6, first 2 shown]
	v_mul_f64 v[176:177], v[114:115], s[26:27]
	v_mul_f64 v[164:165], v[122:123], s[24:25]
	;; [unrolled: 1-line block ×3, first 2 shown]
	v_add_f64 v[0:1], v[76:77], v[182:183]
	buffer_store_dword v0, off, s[60:63], 0 offset:208 ; 4-byte Folded Spill
	buffer_store_dword v1, off, s[60:63], 0 offset:212 ; 4-byte Folded Spill
	v_add_f64 v[0:1], v[78:79], v[168:169]
	buffer_store_dword v0, off, s[60:63], 0 offset:200 ; 4-byte Folded Spill
	buffer_store_dword v1, off, s[60:63], 0 offset:204 ; 4-byte Folded Spill
	v_add_f64 v[0:1], v[76:77], v[184:185]
	buffer_store_dword v0, off, s[60:63], 0 offset:192 ; 4-byte Folded Spill
	buffer_store_dword v1, off, s[60:63], 0 offset:196 ; 4-byte Folded Spill
	v_add_f64 v[0:1], v[78:79], v[170:171]
	buffer_store_dword v0, off, s[60:63], 0 offset:184 ; 4-byte Folded Spill
	buffer_store_dword v1, off, s[60:63], 0 offset:188 ; 4-byte Folded Spill
	v_add_f64 v[0:1], v[76:77], v[180:181]
	buffer_store_dword v0, off, s[60:63], 0 offset:176 ; 4-byte Folded Spill
	buffer_store_dword v1, off, s[60:63], 0 offset:180 ; 4-byte Folded Spill
	v_add_f64 v[0:1], v[78:79], v[150:151]
	v_add_f64 v[194:195], v[76:77], v[154:155]
	;; [unrolled: 1-line block ×6, first 2 shown]
	v_mul_f64 v[190:191], v[139:140], s[52:53]
	buffer_store_dword v0, off, s[60:63], 0 offset:168 ; 4-byte Folded Spill
	buffer_store_dword v1, off, s[60:63], 0 offset:172 ; 4-byte Folded Spill
	v_add_f64 v[0:1], v[76:77], v[152:153]
	v_mul_f64 v[182:183], v[137:138], s[52:53]
	v_mul_f64 v[180:181], v[135:136], s[50:51]
	;; [unrolled: 1-line block ×4, first 2 shown]
	v_fma_f64 v[76:77], v[86:87], s[16:17], -v[190:191]
	buffer_store_dword v0, off, s[60:63], 0 offset:160 ; 4-byte Folded Spill
	buffer_store_dword v1, off, s[60:63], 0 offset:164 ; 4-byte Folded Spill
	v_fma_f64 v[78:79], v[84:85], s[16:17], v[182:183]
	v_fma_f64 v[150:151], v[90:91], s[20:21], -v[180:181]
	v_mul_f64 v[0:1], v[128:129], s[38:39]
	v_mul_f64 v[126:127], v[126:127], s[26:27]
	v_add_f64 v[76:77], v[76:77], v[172:173]
	v_add_f64 v[78:79], v[78:79], v[174:175]
	v_mul_f64 v[174:175], v[118:119], s[36:37]
	v_fma_f64 v[2:3], v[112:113], s[8:9], -v[0:1]
	v_fma_f64 v[0:1], v[112:113], s[8:9], v[0:1]
	v_add_f64 v[76:77], v[150:151], v[76:77]
	v_fma_f64 v[150:151], v[88:89], s[20:21], v[196:197]
	v_add_f64 v[78:79], v[150:151], v[78:79]
	v_fma_f64 v[150:151], v[94:95], s[22:23], -v[198:199]
	v_add_f64 v[76:77], v[150:151], v[76:77]
	v_fma_f64 v[150:151], v[92:93], s[22:23], v[200:201]
	v_add_f64 v[78:79], v[150:151], v[78:79]
	v_fma_f64 v[150:151], v[102:103], s[18:19], -v[202:203]
	;; [unrolled: 4-line block ×5, first 2 shown]
	v_add_f64 v[172:173], v[78:79], v[76:77]
	v_fma_f64 v[76:77], v[120:121], s[0:1], v[164:165]
	v_mov_b32_e32 v78, v236
	v_mov_b32_e32 v79, v237
	;; [unrolled: 1-line block ×4, first 2 shown]
	v_add_f64 v[170:171], v[76:77], v[150:151]
	v_fma_f64 v[150:151], v[86:87], s[22:23], -v[166:167]
	v_mul_f64 v[76:77], v[122:123], s[34:35]
	v_add_f64 v[150:151], v[150:151], v[162:163]
	v_mul_f64 v[162:163], v[137:138], s[44:45]
	v_fma_f64 v[152:153], v[84:85], s[22:23], v[162:163]
	v_add_f64 v[152:153], v[152:153], v[178:179]
	v_mul_f64 v[178:179], v[135:136], s[26:27]
	v_fma_f64 v[220:221], v[90:91], s[10:11], -v[178:179]
	v_add_f64 v[150:151], v[220:221], v[150:151]
	v_mul_f64 v[220:221], v[133:134], s[26:27]
	v_fma_f64 v[222:223], v[88:89], s[10:11], v[220:221]
	v_add_f64 v[152:153], v[222:223], v[152:153]
	v_mul_f64 v[222:223], v[130:131], s[24:25]
	v_fma_f64 v[224:225], v[94:95], s[0:1], -v[222:223]
	v_add_f64 v[150:151], v[224:225], v[150:151]
	v_mul_f64 v[224:225], v[110:111], s[24:25]
	v_fma_f64 v[226:227], v[92:93], s[0:1], v[224:225]
	v_add_f64 v[152:153], v[226:227], v[152:153]
	v_mul_f64 v[226:227], v[108:109], s[46:47]
	v_fma_f64 v[228:229], v[102:103], s[2:3], -v[226:227]
	v_add_f64 v[150:151], v[228:229], v[150:151]
	v_mul_f64 v[228:229], v[98:99], s[46:47]
	v_fma_f64 v[230:231], v[96:97], s[2:3], v[228:229]
	v_add_f64 v[152:153], v[230:231], v[152:153]
	v_mul_f64 v[230:231], v[128:129], s[48:49]
	v_mul_f64 v[128:129], v[128:129], s[30:31]
	v_fma_f64 v[232:233], v[112:113], s[18:19], -v[230:231]
	v_add_f64 v[150:151], v[232:233], v[150:151]
	v_mul_f64 v[232:233], v[114:115], s[48:49]
	v_fma_f64 v[234:235], v[100:101], s[18:19], v[232:233]
	v_add_f64 v[152:153], v[234:235], v[152:153]
	v_mul_f64 v[234:235], v[118:119], s[42:43]
	v_mul_f64 v[118:119], v[118:119], s[38:39]
	v_fma_f64 v[236:237], v[106:107], s[20:21], -v[234:235]
	v_add_f64 v[150:151], v[236:237], v[150:151]
	v_mul_f64 v[236:237], v[116:117], s[42:43]
	s_mov_b32 s43, 0x3fc7851a
	s_mov_b32 s42, s24
	v_fma_f64 v[238:239], v[104:105], s[20:21], v[236:237]
	v_add_f64 v[238:239], v[238:239], v[152:153]
	v_fma_f64 v[152:153], v[124:125], s[8:9], -v[82:83]
	v_add_f64 v[152:153], v[152:153], v[150:151]
	v_fma_f64 v[150:151], v[120:121], s[8:9], v[76:77]
	v_add_f64 v[150:151], v[150:151], v[238:239]
	v_mul_f64 v[238:239], v[139:140], s[26:27]
	v_fma_f64 v[244:245], v[86:87], s[10:11], -v[238:239]
	v_add_f64 v[154:155], v[244:245], v[154:155]
	v_mul_f64 v[244:245], v[135:136], s[42:43]
	v_mul_f64 v[135:136], v[135:136], s[28:29]
	v_fma_f64 v[246:247], v[90:91], s[0:1], -v[244:245]
	v_add_f64 v[154:155], v[246:247], v[154:155]
	v_mul_f64 v[246:247], v[137:138], s[26:27]
	v_fma_f64 v[248:249], v[84:85], s[10:11], v[246:247]
	v_add_f64 v[156:157], v[248:249], v[156:157]
	v_mul_f64 v[248:249], v[130:131], s[48:49]
	v_mul_f64 v[130:131], v[130:131], s[50:51]
	v_fma_f64 v[250:251], v[94:95], s[18:19], -v[248:249]
	v_add_f64 v[154:155], v[250:251], v[154:155]
	v_mul_f64 v[250:251], v[133:134], s[42:43]
	v_fma_f64 v[252:253], v[88:89], s[0:1], v[250:251]
	v_add_f64 v[156:157], v[252:253], v[156:157]
	v_mul_f64 v[252:253], v[108:109], s[28:29]
	v_fma_f64 v[144:145], v[102:103], s[16:17], -v[252:253]
	v_add_f64 v[144:145], v[144:145], v[154:155]
	v_fma_f64 v[154:155], v[92:93], s[18:19], v[254:255]
	v_add_f64 v[2:3], v[2:3], v[144:145]
	v_mul_f64 v[144:145], v[98:99], s[28:29]
	v_add_f64 v[154:155], v[154:155], v[156:157]
	v_add_f64 v[2:3], v[38:39], v[2:3]
	v_fma_f64 v[156:157], v[96:97], s[16:17], v[144:145]
	v_mul_f64 v[38:39], v[116:117], s[44:45]
	v_mul_f64 v[116:117], v[116:117], s[38:39]
	v_add_f64 v[154:155], v[156:157], v[154:155]
	v_add_f64 v[156:157], v[42:43], v[2:3]
	v_mul_f64 v[2:3], v[122:123], s[36:37]
	v_add_f64 v[34:35], v[34:35], v[154:155]
	v_fma_f64 v[154:155], v[104:105], s[22:23], v[38:39]
	v_fma_f64 v[42:43], v[120:121], s[2:3], v[2:3]
	v_fma_f64 v[2:3], v[120:121], s[2:3], -v[2:3]
	v_add_f64 v[34:35], v[154:155], v[34:35]
	v_add_f64 v[154:155], v[42:43], v[34:35]
	v_mul_f64 v[34:35], v[139:140], s[24:25]
	v_fma_f64 v[42:43], v[86:87], s[0:1], -v[34:35]
	v_fma_f64 v[34:35], v[86:87], s[0:1], v[34:35]
	v_add_f64 v[42:43], v[42:43], v[158:159]
	v_add_f64 v[42:43], v[46:47], v[42:43]
	v_mul_f64 v[46:47], v[137:138], s[24:25]
	v_mul_f64 v[137:138], v[137:138], s[46:47]
	v_add_f64 v[42:43], v[50:51], v[42:43]
	v_fma_f64 v[158:159], v[84:85], s[0:1], v[46:47]
	v_mul_f64 v[50:51], v[133:134], s[48:49]
	v_mul_f64 v[133:134], v[133:134], s[28:29]
	v_fma_f64 v[46:47], v[84:85], s[0:1], -v[46:47]
	v_add_f64 v[42:43], v[54:55], v[42:43]
	v_add_f64 v[158:159], v[158:159], v[160:161]
	v_fma_f64 v[160:161], v[88:89], s[18:19], v[50:51]
	v_mul_f64 v[54:55], v[110:111], s[34:35]
	v_add_f64 v[42:43], v[58:59], v[42:43]
	v_mul_f64 v[58:59], v[98:99], s[50:51]
	v_add_f64 v[158:159], v[160:161], v[158:159]
	v_fma_f64 v[160:161], v[92:93], s[8:9], v[54:55]
	v_mul_f64 v[98:99], v[98:99], s[24:25]
	v_add_f64 v[42:43], v[62:63], v[42:43]
	v_mul_f64 v[62:63], v[114:115], s[36:37]
	v_mul_f64 v[114:115], v[114:115], s[30:31]
	v_add_f64 v[158:159], v[160:161], v[158:159]
	v_fma_f64 v[160:161], v[96:97], s[20:21], v[58:59]
	v_add_f64 v[158:159], v[160:161], v[158:159]
	v_fma_f64 v[160:161], v[100:101], s[2:3], v[62:63]
	v_add_f64 v[158:159], v[160:161], v[158:159]
	v_add_f64 v[160:161], v[70:71], v[42:43]
	v_mul_f64 v[42:43], v[122:123], s[28:29]
	v_mul_f64 v[122:123], v[122:123], s[26:27]
	v_add_f64 v[66:67], v[66:67], v[158:159]
	v_fma_f64 v[70:71], v[120:121], s[16:17], v[42:43]
	v_fma_f64 v[42:43], v[120:121], s[16:17], -v[42:43]
	v_add_f64 v[158:159], v[70:71], v[66:67]
	v_mul_f64 v[66:67], v[139:140], s[46:47]
	v_fma_f64 v[139:140], v[90:91], s[16:17], -v[135:136]
	v_fma_f64 v[70:71], v[86:87], s[2:3], -v[66:67]
	v_fma_f64 v[66:67], v[86:87], s[2:3], v[66:67]
	v_add_f64 v[70:71], v[70:71], v[192:193]
	v_fma_f64 v[192:193], v[106:107], s[8:9], -v[118:119]
	v_add_f64 v[70:71], v[139:140], v[70:71]
	v_fma_f64 v[139:140], v[94:95], s[20:21], -v[130:131]
	v_fma_f64 v[130:131], v[94:95], s[20:21], v[130:131]
	v_add_f64 v[70:71], v[139:140], v[70:71]
	v_mul_f64 v[139:140], v[108:109], s[24:25]
	v_fma_f64 v[108:109], v[102:103], s[0:1], -v[139:140]
	v_add_f64 v[70:71], v[108:109], v[70:71]
	v_fma_f64 v[108:109], v[112:113], s[22:23], -v[128:129]
	v_fma_f64 v[128:129], v[112:113], s[22:23], v[128:129]
	v_add_f64 v[70:71], v[108:109], v[70:71]
	v_fma_f64 v[108:109], v[84:85], s[2:3], v[137:138]
	v_add_f64 v[70:71], v[192:193], v[70:71]
	v_add_f64 v[108:109], v[108:109], v[194:195]
	v_fma_f64 v[192:193], v[88:89], s[16:17], v[133:134]
	v_add_f64 v[108:109], v[192:193], v[108:109]
	v_mul_f64 v[192:193], v[110:111], s[50:51]
	v_fma_f64 v[110:111], v[92:93], s[20:21], v[192:193]
	v_add_f64 v[108:109], v[110:111], v[108:109]
	v_fma_f64 v[110:111], v[96:97], s[0:1], v[98:99]
	v_fma_f64 v[98:99], v[96:97], s[0:1], -v[98:99]
	v_add_f64 v[108:109], v[110:111], v[108:109]
	v_fma_f64 v[110:111], v[100:101], s[22:23], v[114:115]
	v_add_f64 v[108:109], v[110:111], v[108:109]
	v_fma_f64 v[110:111], v[104:105], s[8:9], v[116:117]
	v_add_f64 v[108:109], v[110:111], v[108:109]
	v_fma_f64 v[110:111], v[124:125], s[10:11], -v[126:127]
	v_add_f64 v[110:111], v[110:111], v[70:71]
	v_fma_f64 v[70:71], v[120:121], s[10:11], v[122:123]
	v_add_f64 v[108:109], v[70:71], v[108:109]
	s_clause 0x1
	buffer_load_dword v70, off, s[60:63], 0 offset:216
	buffer_load_dword v71, off, s[60:63], 0 offset:220
	s_waitcnt vmcnt(0)
	v_add_f64 v[66:67], v[66:67], v[70:71]
	v_fma_f64 v[70:71], v[90:91], s[16:17], v[135:136]
	s_clause 0x1
	buffer_load_dword v135, off, s[60:63], 0 offset:208
	buffer_load_dword v136, off, s[60:63], 0 offset:212
	v_add_f64 v[66:67], v[70:71], v[66:67]
	v_fma_f64 v[70:71], v[84:85], s[2:3], -v[137:138]
	v_add_f64 v[66:67], v[130:131], v[66:67]
	v_fma_f64 v[130:131], v[88:89], s[16:17], -v[133:134]
	s_waitcnt vmcnt(0)
	v_add_f64 v[70:71], v[70:71], v[135:136]
	v_add_f64 v[70:71], v[130:131], v[70:71]
	v_fma_f64 v[130:131], v[102:103], s[0:1], v[139:140]
	v_add_f64 v[66:67], v[130:131], v[66:67]
	v_fma_f64 v[130:131], v[92:93], s[20:21], -v[192:193]
	v_add_f64 v[66:67], v[128:129], v[66:67]
	v_add_f64 v[70:71], v[130:131], v[70:71]
	;; [unrolled: 1-line block ×3, first 2 shown]
	v_fma_f64 v[98:99], v[106:107], s[8:9], v[118:119]
	v_add_f64 v[66:67], v[98:99], v[66:67]
	v_fma_f64 v[98:99], v[100:101], s[22:23], -v[114:115]
	v_fma_f64 v[114:115], v[120:121], s[10:11], -v[122:123]
	v_add_f64 v[70:71], v[98:99], v[70:71]
	v_fma_f64 v[98:99], v[104:105], s[8:9], -v[116:117]
	v_add_f64 v[70:71], v[98:99], v[70:71]
	v_fma_f64 v[98:99], v[124:125], s[10:11], v[126:127]
	v_add_f64 v[114:115], v[114:115], v[70:71]
	v_add_f64 v[116:117], v[98:99], v[66:67]
	s_clause 0x1
	buffer_load_dword v66, off, s[60:63], 0 offset:200
	buffer_load_dword v67, off, s[60:63], 0 offset:204
	s_waitcnt vmcnt(0)
	v_add_f64 v[34:35], v[34:35], v[66:67]
	s_clause 0x1
	buffer_load_dword v66, off, s[60:63], 0 offset:192
	buffer_load_dword v67, off, s[60:63], 0 offset:196
	v_add_f64 v[34:35], v[44:45], v[34:35]
	v_fma_f64 v[44:45], v[88:89], s[18:19], -v[50:51]
	s_waitcnt vmcnt(0)
	v_add_f64 v[46:47], v[46:47], v[66:67]
	v_add_f64 v[44:45], v[44:45], v[46:47]
	v_fma_f64 v[46:47], v[94:95], s[8:9], v[48:49]
	v_add_f64 v[34:35], v[46:47], v[34:35]
	v_fma_f64 v[46:47], v[92:93], s[8:9], -v[54:55]
	v_add_f64 v[44:45], v[46:47], v[44:45]
	v_fma_f64 v[46:47], v[102:103], s[20:21], v[52:53]
	v_add_f64 v[34:35], v[46:47], v[34:35]
	v_fma_f64 v[46:47], v[96:97], s[20:21], -v[58:59]
	;; [unrolled: 4-line block ×4, first 2 shown]
	v_mov_b32_e32 v67, v23
	v_mov_b32_e32 v66, v22
	;; [unrolled: 1-line block ×4, first 2 shown]
	s_clause 0x1
	buffer_load_dword v20, off, s[60:63], 0 offset:184
	buffer_load_dword v21, off, s[60:63], 0 offset:188
	v_add_f64 v[44:45], v[46:47], v[44:45]
	v_fma_f64 v[46:47], v[124:125], s[16:17], v[68:69]
	v_mov_b32_e32 v71, v27
	v_mov_b32_e32 v70, v26
	;; [unrolled: 1-line block ×4, first 2 shown]
	v_add_f64 v[126:127], v[42:43], v[44:45]
	v_fma_f64 v[42:43], v[84:85], s[10:11], -v[246:247]
	v_fma_f64 v[44:45], v[90:91], s[0:1], v[244:245]
	v_mov_b32_e32 v247, v7
	v_mov_b32_e32 v246, v6
	;; [unrolled: 1-line block ×4, first 2 shown]
	s_clause 0x1
	buffer_load_dword v4, off, s[60:63], 0 offset:176
	buffer_load_dword v5, off, s[60:63], 0 offset:180
	v_add_f64 v[128:129], v[46:47], v[34:35]
	v_fma_f64 v[34:35], v[86:87], s[10:11], v[238:239]
	v_add_f64 v[42:43], v[42:43], v[186:187]
	s_waitcnt vmcnt(2)
	v_add_f64 v[34:35], v[34:35], v[20:21]
	v_add_f64 v[34:35], v[44:45], v[34:35]
	v_fma_f64 v[44:45], v[88:89], s[0:1], -v[250:251]
	v_add_f64 v[42:43], v[44:45], v[42:43]
	v_fma_f64 v[44:45], v[94:95], s[18:19], v[248:249]
	v_add_f64 v[34:35], v[44:45], v[34:35]
	v_fma_f64 v[44:45], v[92:93], s[18:19], -v[254:255]
	v_mov_b32_e32 v255, v143
	v_add_f64 v[42:43], v[44:45], v[42:43]
	v_fma_f64 v[44:45], v[102:103], s[16:17], v[252:253]
	v_add_f64 v[34:35], v[44:45], v[34:35]
	v_fma_f64 v[44:45], v[96:97], s[16:17], -v[144:145]
	v_add_f64 v[0:1], v[0:1], v[34:35]
	v_add_f64 v[42:43], v[44:45], v[42:43]
	v_fma_f64 v[34:35], v[106:107], s[22:23], v[36:37]
	v_fma_f64 v[36:37], v[94:95], s[22:23], v[198:199]
	v_add_f64 v[32:33], v[32:33], v[42:43]
	v_add_f64 v[0:1], v[34:35], v[0:1]
	v_fma_f64 v[34:35], v[104:105], s[22:23], -v[38:39]
	v_add_f64 v[32:33], v[34:35], v[32:33]
	v_fma_f64 v[34:35], v[124:125], s[2:3], v[40:41]
	v_add_f64 v[133:134], v[2:3], v[32:33]
	v_fma_f64 v[2:3], v[84:85], s[22:23], -v[162:163]
	v_add_f64 v[135:136], v[34:35], v[0:1]
	v_fma_f64 v[0:1], v[86:87], s[22:23], v[166:167]
	v_fma_f64 v[32:33], v[90:91], s[10:11], v[178:179]
	v_fma_f64 v[34:35], v[120:121], s[8:9], -v[76:77]
	s_waitcnt vmcnt(0)
	v_add_f64 v[2:3], v[2:3], v[4:5]
	s_clause 0x1
	buffer_load_dword v4, off, s[60:63], 0 offset:168
	buffer_load_dword v5, off, s[60:63], 0 offset:172
	v_add_f64 v[0:1], v[0:1], v[188:189]
	v_add_f64 v[0:1], v[32:33], v[0:1]
	v_fma_f64 v[32:33], v[88:89], s[10:11], -v[220:221]
	v_add_f64 v[2:3], v[32:33], v[2:3]
	v_fma_f64 v[32:33], v[94:95], s[0:1], v[222:223]
	v_mov_b32_e32 v223, v149
	v_mov_b32_e32 v222, v148
	v_mov_b32_e32 v221, v147
	v_mov_b32_e32 v220, v146
	v_add_f64 v[0:1], v[32:33], v[0:1]
	v_fma_f64 v[32:33], v[92:93], s[0:1], -v[224:225]
	v_add_f64 v[2:3], v[32:33], v[2:3]
	v_fma_f64 v[32:33], v[102:103], s[2:3], v[226:227]
	v_mov_b32_e32 v227, v19
	v_mov_b32_e32 v226, v18
	v_mov_b32_e32 v225, v17
	v_mov_b32_e32 v224, v16
	;; [unrolled: 8-line block ×4, first 2 shown]
	v_add_f64 v[0:1], v[32:33], v[0:1]
	v_fma_f64 v[32:33], v[104:105], s[20:21], -v[236:237]
	v_mov_b32_e32 v239, v81
	v_mov_b32_e32 v238, v80
	;; [unrolled: 1-line block ×4, first 2 shown]
	v_add_f64 v[2:3], v[32:33], v[2:3]
	v_fma_f64 v[32:33], v[124:125], s[8:9], v[82:83]
	v_add_f64 v[137:138], v[34:35], v[2:3]
	v_add_f64 v[139:140], v[32:33], v[0:1]
	v_fma_f64 v[0:1], v[86:87], s[16:17], v[190:191]
	v_fma_f64 v[2:3], v[84:85], s[16:17], -v[182:183]
	v_fma_f64 v[32:33], v[90:91], s[20:21], v[180:181]
	v_fma_f64 v[34:35], v[88:89], s[20:21], -v[196:197]
	s_waitcnt vmcnt(0)
	v_add_f64 v[0:1], v[0:1], v[4:5]
	s_clause 0x1
	buffer_load_dword v4, off, s[60:63], 0 offset:160
	buffer_load_dword v5, off, s[60:63], 0 offset:164
	v_add_f64 v[0:1], v[32:33], v[0:1]
	v_fma_f64 v[32:33], v[92:93], s[22:23], -v[200:201]
	v_add_f64 v[0:1], v[36:37], v[0:1]
	v_fma_f64 v[36:37], v[96:97], s[18:19], -v[204:205]
	s_waitcnt vmcnt(0)
	v_add_f64 v[2:3], v[2:3], v[4:5]
	v_add_f64 v[2:3], v[34:35], v[2:3]
	v_fma_f64 v[34:35], v[102:103], s[18:19], v[202:203]
	v_add_f64 v[2:3], v[32:33], v[2:3]
	v_fma_f64 v[32:33], v[112:113], s[10:11], v[206:207]
	v_add_f64 v[0:1], v[34:35], v[0:1]
	v_fma_f64 v[34:35], v[100:101], s[10:11], -v[176:177]
	v_add_f64 v[2:3], v[36:37], v[2:3]
	v_fma_f64 v[36:37], v[106:107], s[2:3], v[174:175]
	v_add_f64 v[0:1], v[32:33], v[0:1]
	v_fma_f64 v[32:33], v[104:105], s[2:3], -v[168:169]
	;; [unrolled: 4-line block ×3, first 2 shown]
	s_clause 0x1
	buffer_load_dword v125, off, s[60:63], 0 offset:56
	buffer_load_dword v124, off, s[60:63], 0 offset:48
	v_add_f64 v[2:3], v[32:33], v[2:3]
	buffer_load_dword v32, off, s[60:63], 0 ; 4-byte Folded Reload
	v_add_f64 v[86:87], v[34:35], v[0:1]
	buffer_load_dword v0, off, s[60:63], 0 offset:8 ; 4-byte Folded Reload
	v_add_f64 v[84:85], v[36:37], v[2:3]
	s_clause 0x3
	buffer_load_dword v1, off, s[60:63], 0 offset:20
	buffer_load_dword v2, off, s[60:63], 0 offset:24
	;; [unrolled: 1-line block ×4, first 2 shown]
	s_waitcnt vmcnt(5)
	v_mul_lo_u16 v32, v32, 17
	v_and_b32_e32 v32, 0xffff, v32
	s_waitcnt vmcnt(4)
	v_lshl_add_u32 v0, v32, 4, v0
	s_waitcnt vmcnt(0)
	ds_write_b128 v0, v[1:4]
	ds_write_b128 v0, v[170:173] offset:16
	ds_write_b128 v0, v[150:153] offset:32
	;; [unrolled: 1-line block ×5, first 2 shown]
	s_clause 0x3
	buffer_load_dword v1, off, s[60:63], 0 offset:144
	buffer_load_dword v2, off, s[60:63], 0 offset:148
	buffer_load_dword v3, off, s[60:63], 0 offset:152
	buffer_load_dword v4, off, s[60:63], 0 offset:156
	s_waitcnt vmcnt(0)
	ds_write_b128 v0, v[1:4] offset:96
	s_clause 0x3
	buffer_load_dword v1, off, s[60:63], 0 offset:112
	buffer_load_dword v2, off, s[60:63], 0 offset:116
	buffer_load_dword v3, off, s[60:63], 0 offset:120
	buffer_load_dword v4, off, s[60:63], 0 offset:124
	s_waitcnt vmcnt(0)
	ds_write_b128 v0, v[1:4] offset:112
	s_clause 0x3
	buffer_load_dword v1, off, s[60:63], 0 offset:80
	buffer_load_dword v2, off, s[60:63], 0 offset:84
	buffer_load_dword v3, off, s[60:63], 0 offset:88
	buffer_load_dword v4, off, s[60:63], 0 offset:92
	s_waitcnt vmcnt(0)
	ds_write_b128 v0, v[1:4] offset:128
	s_clause 0x3
	buffer_load_dword v1, off, s[60:63], 0 offset:64
	buffer_load_dword v2, off, s[60:63], 0 offset:68
	buffer_load_dword v3, off, s[60:63], 0 offset:72
	buffer_load_dword v4, off, s[60:63], 0 offset:76
	s_waitcnt vmcnt(0)
	ds_write_b128 v0, v[1:4] offset:144
	s_clause 0x3
	buffer_load_dword v1, off, s[60:63], 0 offset:96
	buffer_load_dword v2, off, s[60:63], 0 offset:100
	buffer_load_dword v3, off, s[60:63], 0 offset:104
	buffer_load_dword v4, off, s[60:63], 0 offset:108
	s_waitcnt vmcnt(0)
	ds_write_b128 v0, v[1:4] offset:160
	s_clause 0x3
	buffer_load_dword v1, off, s[60:63], 0 offset:128
	buffer_load_dword v2, off, s[60:63], 0 offset:132
	buffer_load_dword v3, off, s[60:63], 0 offset:136
	buffer_load_dword v4, off, s[60:63], 0 offset:140
	s_waitcnt vmcnt(0)
	ds_write_b128 v0, v[1:4] offset:176
	ds_write_b128 v0, v[114:117] offset:192
	ds_write_b128 v0, v[126:129] offset:208
	ds_write_b128 v0, v[133:136] offset:224
	ds_write_b128 v0, v[137:140] offset:240
	ds_write_b128 v0, v[84:87] offset:256
.LBB0_13:
	s_or_b32 exec_lo, exec_lo, s33
	s_waitcnt lgkmcnt(0)
	s_waitcnt_vscnt null, 0x0
	s_barrier
	buffer_gl0_inv
	ds_read_b128 v[0:3], v141 offset:816
	ds_read_b128 v[4:7], v141 offset:1632
	;; [unrolled: 1-line block ×10, first 2 shown]
	ds_read_b128 v[96:99], v141
	ds_read_b128 v[100:103], v141 offset:272
	s_waitcnt lgkmcnt(0)
	s_barrier
	buffer_gl0_inv
	s_mov_b32 s0, 0xe8584caa
	s_mov_b32 s1, 0xbfebb67a
	;; [unrolled: 1-line block ×4, first 2 shown]
	v_mul_f64 v[32:33], v[30:31], v[2:3]
	v_mul_f64 v[34:35], v[30:31], v[0:1]
	;; [unrolled: 1-line block ×18, first 2 shown]
	v_fma_f64 v[0:1], v[28:29], v[0:1], v[32:33]
	v_fma_f64 v[2:3], v[28:29], v[2:3], -v[34:35]
	v_fma_f64 v[4:5], v[208:209], v[4:5], v[36:37]
	v_fma_f64 v[6:7], v[208:209], v[6:7], -v[38:39]
	;; [unrolled: 2-line block ×9, first 2 shown]
	v_add_f64 v[36:37], v[96:97], -v[4:5]
	v_add_f64 v[38:39], v[98:99], -v[6:7]
	;; [unrolled: 1-line block ×12, first 2 shown]
	v_fma_f64 v[34:35], v[96:97], 2.0, -v[36:37]
	v_fma_f64 v[48:49], v[98:99], 2.0, -v[38:39]
	v_fma_f64 v[18:19], v[0:1], 2.0, -v[4:5]
	v_fma_f64 v[20:21], v[2:3], 2.0, -v[6:7]
	v_add_f64 v[0:1], v[36:37], v[6:7]
	v_add_f64 v[2:3], v[38:39], -v[4:5]
	v_fma_f64 v[50:51], v[100:101], 2.0, -v[40:41]
	v_fma_f64 v[52:53], v[102:103], 2.0, -v[42:43]
	v_fma_f64 v[28:29], v[12:13], 2.0, -v[8:9]
	v_fma_f64 v[30:31], v[14:15], 2.0, -v[10:11]
	v_add_f64 v[4:5], v[40:41], v[10:11]
	v_add_f64 v[6:7], v[42:43], -v[8:9]
	;; [unrolled: 6-line block ×3, first 2 shown]
	v_add_f64 v[12:13], v[34:35], -v[18:19]
	v_add_f64 v[14:15], v[48:49], -v[20:21]
	v_fma_f64 v[24:25], v[36:37], 2.0, -v[0:1]
	v_add_f64 v[16:17], v[50:51], -v[28:29]
	v_add_f64 v[18:19], v[52:53], -v[30:31]
	v_fma_f64 v[28:29], v[40:41], 2.0, -v[4:5]
	v_fma_f64 v[30:31], v[42:43], 2.0, -v[6:7]
	v_add_f64 v[20:21], v[54:55], -v[22:23]
	v_add_f64 v[22:23], v[56:57], -v[26:27]
	v_fma_f64 v[26:27], v[38:39], 2.0, -v[2:3]
	v_fma_f64 v[32:33], v[44:45], 2.0, -v[8:9]
	;; [unrolled: 1-line block ×9, first 2 shown]
	ds_write_b128 v141, v[0:3] offset:816
	ds_write_b128 v141, v[4:7] offset:1904
	;; [unrolled: 1-line block ×6, first 2 shown]
	ds_write_b128 v141, v[36:39]
	ds_write_b128 v141, v[40:43] offset:1088
	ds_write_b128 v132, v[76:79] offset:2176
	;; [unrolled: 1-line block ×5, first 2 shown]
	s_waitcnt lgkmcnt(0)
	s_barrier
	buffer_gl0_inv
	ds_read_b128 v[0:3], v141 offset:1088
	ds_read_b128 v[4:7], v141 offset:2176
	;; [unrolled: 1-line block ×8, first 2 shown]
	s_waitcnt lgkmcnt(7)
	v_mul_f64 v[32:33], v[70:71], v[2:3]
	v_mul_f64 v[34:35], v[70:71], v[0:1]
	s_waitcnt lgkmcnt(6)
	v_mul_f64 v[36:37], v[66:67], v[6:7]
	v_mul_f64 v[38:39], v[66:67], v[4:5]
	;; [unrolled: 3-line block ×6, first 2 shown]
	s_waitcnt lgkmcnt(1)
	v_mul_f64 v[56:57], v[246:247], v[26:27]
	s_waitcnt lgkmcnt(0)
	v_mul_f64 v[58:59], v[238:239], v[30:31]
	v_mul_f64 v[60:61], v[246:247], v[24:25]
	;; [unrolled: 1-line block ×3, first 2 shown]
	v_fma_f64 v[32:33], v[68:69], v[0:1], v[32:33]
	v_fma_f64 v[34:35], v[68:69], v[2:3], -v[34:35]
	v_fma_f64 v[36:37], v[64:65], v[4:5], v[36:37]
	v_fma_f64 v[38:39], v[64:65], v[6:7], -v[38:39]
	;; [unrolled: 2-line block ×6, first 2 shown]
	v_fma_f64 v[24:25], v[244:245], v[24:25], v[56:57]
	v_fma_f64 v[28:29], v[236:237], v[28:29], v[58:59]
	v_fma_f64 v[26:27], v[244:245], v[26:27], -v[60:61]
	v_fma_f64 v[30:31], v[236:237], v[30:31], -v[62:63]
	ds_read_b128 v[0:3], v141
	ds_read_b128 v[4:7], v141 offset:272
	ds_read_b128 v[8:11], v141 offset:544
	;; [unrolled: 1-line block ×3, first 2 shown]
	v_add_f64 v[48:49], v[32:33], v[36:37]
	v_add_f64 v[50:51], v[34:35], v[38:39]
	v_add_f64 v[62:63], v[34:35], -v[38:39]
	v_add_f64 v[52:53], v[40:41], v[44:45]
	v_add_f64 v[54:55], v[42:43], v[46:47]
	;; [unrolled: 1-line block ×4, first 2 shown]
	v_add_f64 v[80:81], v[18:19], -v[22:23]
	v_add_f64 v[64:65], v[24:25], v[28:29]
	s_waitcnt lgkmcnt(3)
	v_add_f64 v[58:59], v[0:1], v[32:33]
	v_add_f64 v[66:67], v[26:27], v[30:31]
	;; [unrolled: 1-line block ×3, first 2 shown]
	s_waitcnt lgkmcnt(2)
	v_add_f64 v[68:69], v[4:5], v[40:41]
	v_add_f64 v[70:71], v[6:7], v[42:43]
	s_waitcnt lgkmcnt(1)
	v_add_f64 v[72:73], v[8:9], v[16:17]
	v_add_f64 v[74:75], v[10:11], v[18:19]
	v_add_f64 v[32:33], v[32:33], -v[36:37]
	v_add_f64 v[42:43], v[42:43], -v[46:47]
	;; [unrolled: 1-line block ×3, first 2 shown]
	v_fma_f64 v[48:49], v[48:49], -0.5, v[0:1]
	v_fma_f64 v[50:51], v[50:51], -0.5, v[2:3]
	s_waitcnt lgkmcnt(0)
	v_add_f64 v[76:77], v[12:13], v[24:25]
	v_add_f64 v[78:79], v[14:15], v[26:27]
	v_fma_f64 v[52:53], v[52:53], -0.5, v[4:5]
	v_fma_f64 v[54:55], v[54:55], -0.5, v[6:7]
	v_add_f64 v[82:83], v[16:17], -v[20:21]
	v_add_f64 v[84:85], v[26:27], -v[30:31]
	v_fma_f64 v[56:57], v[56:57], -0.5, v[8:9]
	v_fma_f64 v[60:61], v[60:61], -0.5, v[10:11]
	v_add_f64 v[86:87], v[24:25], -v[28:29]
	v_fma_f64 v[64:65], v[64:65], -0.5, v[12:13]
	v_add_f64 v[0:1], v[58:59], v[36:37]
	v_fma_f64 v[58:59], v[66:67], -0.5, v[14:15]
	v_add_f64 v[2:3], v[34:35], v[38:39]
	v_add_f64 v[4:5], v[68:69], v[44:45]
	v_add_f64 v[6:7], v[70:71], v[46:47]
	v_add_f64 v[8:9], v[72:73], v[20:21]
	v_add_f64 v[10:11], v[74:75], v[22:23]
	v_fma_f64 v[16:17], v[62:63], s[0:1], v[48:49]
	v_fma_f64 v[18:19], v[32:33], s[2:3], v[50:51]
	;; [unrolled: 1-line block ×6, first 2 shown]
	v_add_f64 v[12:13], v[76:77], v[28:29]
	v_add_f64 v[14:15], v[78:79], v[30:31]
	v_fma_f64 v[28:29], v[42:43], s[2:3], v[52:53]
	v_fma_f64 v[30:31], v[40:41], s[0:1], v[54:55]
	;; [unrolled: 1-line block ×10, first 2 shown]
	ds_write_b128 v142, v[0:3]
	ds_write_b128 v142, v[4:7] offset:272
	ds_write_b128 v142, v[8:11] offset:544
	;; [unrolled: 1-line block ×11, first 2 shown]
	s_waitcnt lgkmcnt(0)
	s_barrier
	buffer_gl0_inv
	s_clause 0x1
	buffer_load_dword v18, off, s[60:63], 0 offset:12
	buffer_load_dword v19, off, s[60:63], 0 offset:16
	s_and_b32 s0, exec_lo, vcc_lo
	s_mov_b32 exec_lo, s0
	s_cbranch_execz .LBB0_15
; %bb.14:
	s_clause 0x1
	buffer_load_dword v17, off, s[60:63], 0
	buffer_load_dword v0, off, s[60:63], 0 offset:4
	ds_read_b128 v[7:10], v142
	s_waitcnt vmcnt(3)
	v_mad_u64_u32 v[15:16], null, s6, v18, 0
	s_mov_b32 s0, 0x14141414
	s_mov_b32 s1, 0x3f741414
	s_mul_i32 s2, s5, 0xc0
	s_mul_hi_u32 s6, s4, 0xc0
	s_mul_i32 s3, s4, 0xc0
	s_add_i32 s2, s6, s2
	s_mul_i32 s6, s5, 0x180
	s_mul_hi_u32 s8, s4, 0x180
	s_add_i32 s6, s8, s6
	s_waitcnt vmcnt(1)
	v_lshlrev_b32_e32 v19, 4, v17
	global_load_dwordx4 v[3:6], v19, s[12:13]
	s_waitcnt vmcnt(1)
	v_lshl_add_u32 v2, v0, 4, v19
	ds_read_b128 v[11:14], v2 offset:192
	s_waitcnt vmcnt(0) lgkmcnt(1)
	v_mul_f64 v[0:1], v[9:10], v[5:6]
	v_mul_f64 v[5:6], v[7:8], v[5:6]
	v_fma_f64 v[0:1], v[7:8], v[3:4], v[0:1]
	v_fma_f64 v[5:6], v[3:4], v[9:10], -v[5:6]
	v_mad_u64_u32 v[7:8], null, s4, v17, 0
	v_mov_b32_e32 v3, v16
	v_mov_b32_e32 v4, v8
	v_mad_u64_u32 v[8:9], null, s7, v18, v[3:4]
	s_mul_i32 s7, s4, 0x180
	v_mov_b32_e32 v16, v8
	v_mad_u64_u32 v[9:10], null, s5, v17, v[4:5]
	v_mul_f64 v[3:4], v[0:1], s[0:1]
	v_mul_f64 v[5:6], v[5:6], s[0:1]
	v_lshlrev_b64 v[0:1], 4, v[15:16]
	v_mov_b32_e32 v8, v9
	v_add_co_u32 v0, vcc_lo, s14, v0
	v_add_co_ci_u32_e32 v1, vcc_lo, s15, v1, vcc_lo
	v_lshlrev_b64 v[7:8], 4, v[7:8]
	v_add_co_u32 v7, vcc_lo, v0, v7
	v_add_co_ci_u32_e32 v8, vcc_lo, v1, v8, vcc_lo
	v_add_co_u32 v15, vcc_lo, v7, s3
	global_store_dwordx4 v[7:8], v[3:6], off
	global_load_dwordx4 v[3:6], v19, s[12:13] offset:192
	v_add_co_ci_u32_e32 v16, vcc_lo, s2, v8, vcc_lo
	s_waitcnt vmcnt(0) lgkmcnt(0)
	v_mul_f64 v[9:10], v[13:14], v[5:6]
	v_mul_f64 v[5:6], v[11:12], v[5:6]
	v_fma_f64 v[9:10], v[11:12], v[3:4], v[9:10]
	v_fma_f64 v[5:6], v[3:4], v[13:14], -v[5:6]
	v_mul_f64 v[3:4], v[9:10], s[0:1]
	v_mul_f64 v[5:6], v[5:6], s[0:1]
	global_store_dwordx4 v[15:16], v[3:6], off
	global_load_dwordx4 v[3:6], v19, s[12:13] offset:384
	ds_read_b128 v[7:10], v2 offset:384
	ds_read_b128 v[11:14], v2 offset:576
	s_waitcnt vmcnt(0) lgkmcnt(1)
	v_mul_f64 v[17:18], v[9:10], v[5:6]
	v_mul_f64 v[5:6], v[7:8], v[5:6]
	v_fma_f64 v[7:8], v[7:8], v[3:4], v[17:18]
	v_fma_f64 v[5:6], v[3:4], v[9:10], -v[5:6]
	v_mul_f64 v[3:4], v[7:8], s[0:1]
	v_mul_f64 v[5:6], v[5:6], s[0:1]
	v_add_co_u32 v7, vcc_lo, v15, s3
	v_add_co_ci_u32_e32 v8, vcc_lo, s2, v16, vcc_lo
	v_add_co_u32 v15, vcc_lo, v7, s3
	v_add_co_ci_u32_e32 v16, vcc_lo, s2, v8, vcc_lo
	global_store_dwordx4 v[7:8], v[3:6], off
	global_load_dwordx4 v[3:6], v19, s[12:13] offset:576
	s_waitcnt vmcnt(0) lgkmcnt(0)
	v_mul_f64 v[9:10], v[13:14], v[5:6]
	v_mul_f64 v[5:6], v[11:12], v[5:6]
	v_fma_f64 v[9:10], v[11:12], v[3:4], v[9:10]
	v_fma_f64 v[5:6], v[3:4], v[13:14], -v[5:6]
	v_mul_f64 v[3:4], v[9:10], s[0:1]
	v_mul_f64 v[5:6], v[5:6], s[0:1]
	global_store_dwordx4 v[15:16], v[3:6], off
	global_load_dwordx4 v[3:6], v19, s[12:13] offset:768
	ds_read_b128 v[7:10], v2 offset:768
	ds_read_b128 v[11:14], v2 offset:960
	s_waitcnt vmcnt(0) lgkmcnt(1)
	v_mul_f64 v[17:18], v[9:10], v[5:6]
	v_mul_f64 v[5:6], v[7:8], v[5:6]
	v_fma_f64 v[7:8], v[7:8], v[3:4], v[17:18]
	v_fma_f64 v[5:6], v[3:4], v[9:10], -v[5:6]
	buffer_load_dword v4, off, s[60:63], 0 offset:44 ; 4-byte Folded Reload
	v_mul_f64 v[5:6], v[5:6], s[0:1]
	s_waitcnt vmcnt(0)
	v_mad_u64_u32 v[9:10], null, s4, v4, 0
	v_mov_b32_e32 v3, v10
	v_mad_u64_u32 v[17:18], null, s5, v4, v[3:4]
	v_mul_f64 v[3:4], v[7:8], s[0:1]
	v_mov_b32_e32 v10, v17
	v_lshlrev_b64 v[7:8], 4, v[9:10]
	v_add_co_u32 v7, vcc_lo, v0, v7
	v_add_co_ci_u32_e32 v8, vcc_lo, v1, v8, vcc_lo
	v_add_co_u32 v15, vcc_lo, v15, s7
	v_add_co_ci_u32_e32 v16, vcc_lo, s6, v16, vcc_lo
	global_store_dwordx4 v[7:8], v[3:6], off
	global_load_dwordx4 v[3:6], v19, s[12:13] offset:960
	s_waitcnt vmcnt(0) lgkmcnt(0)
	v_mul_f64 v[7:8], v[13:14], v[5:6]
	v_mul_f64 v[5:6], v[11:12], v[5:6]
	v_fma_f64 v[7:8], v[11:12], v[3:4], v[7:8]
	v_fma_f64 v[5:6], v[3:4], v[13:14], -v[5:6]
	v_mul_f64 v[3:4], v[7:8], s[0:1]
	v_mul_f64 v[5:6], v[5:6], s[0:1]
	global_store_dwordx4 v[15:16], v[3:6], off
	global_load_dwordx4 v[3:6], v19, s[12:13] offset:1152
	ds_read_b128 v[7:10], v2 offset:1152
	ds_read_b128 v[11:14], v2 offset:1344
	s_waitcnt vmcnt(0) lgkmcnt(1)
	v_mul_f64 v[17:18], v[9:10], v[5:6]
	v_mul_f64 v[5:6], v[7:8], v[5:6]
	v_fma_f64 v[7:8], v[7:8], v[3:4], v[17:18]
	v_fma_f64 v[5:6], v[3:4], v[9:10], -v[5:6]
	v_mul_f64 v[3:4], v[7:8], s[0:1]
	v_mul_f64 v[5:6], v[5:6], s[0:1]
	v_add_co_u32 v7, vcc_lo, v15, s3
	v_add_co_ci_u32_e32 v8, vcc_lo, s2, v16, vcc_lo
	v_add_co_u32 v15, vcc_lo, v7, s3
	v_add_co_ci_u32_e32 v16, vcc_lo, s2, v8, vcc_lo
	global_store_dwordx4 v[7:8], v[3:6], off
	global_load_dwordx4 v[3:6], v19, s[12:13] offset:1344
	s_waitcnt vmcnt(0) lgkmcnt(0)
	v_mul_f64 v[9:10], v[13:14], v[5:6]
	v_mul_f64 v[5:6], v[11:12], v[5:6]
	v_fma_f64 v[9:10], v[11:12], v[3:4], v[9:10]
	v_fma_f64 v[5:6], v[3:4], v[13:14], -v[5:6]
	v_mul_f64 v[3:4], v[9:10], s[0:1]
	v_mul_f64 v[5:6], v[5:6], s[0:1]
	global_store_dwordx4 v[15:16], v[3:6], off
	global_load_dwordx4 v[3:6], v19, s[12:13] offset:1536
	ds_read_b128 v[7:10], v2 offset:1536
	ds_read_b128 v[11:14], v2 offset:1728
	s_waitcnt vmcnt(0) lgkmcnt(1)
	v_mul_f64 v[17:18], v[9:10], v[5:6]
	v_mul_f64 v[5:6], v[7:8], v[5:6]
	v_fma_f64 v[7:8], v[7:8], v[3:4], v[17:18]
	v_fma_f64 v[5:6], v[3:4], v[9:10], -v[5:6]
	buffer_load_dword v4, off, s[60:63], 0 offset:40 ; 4-byte Folded Reload
	v_mul_f64 v[5:6], v[5:6], s[0:1]
	s_waitcnt vmcnt(0)
	v_mad_u64_u32 v[9:10], null, s4, v4, 0
	v_mov_b32_e32 v3, v10
	v_mad_u64_u32 v[17:18], null, s5, v4, v[3:4]
	v_mul_f64 v[3:4], v[7:8], s[0:1]
	v_mov_b32_e32 v10, v17
	v_lshlrev_b64 v[7:8], 4, v[9:10]
	v_add_co_u32 v7, vcc_lo, v0, v7
	v_add_co_ci_u32_e32 v8, vcc_lo, v1, v8, vcc_lo
	v_add_co_u32 v15, vcc_lo, v15, s7
	v_add_co_ci_u32_e32 v16, vcc_lo, s6, v16, vcc_lo
	global_store_dwordx4 v[7:8], v[3:6], off
	global_load_dwordx4 v[3:6], v19, s[12:13] offset:1728
	s_waitcnt vmcnt(0) lgkmcnt(0)
	v_mul_f64 v[7:8], v[13:14], v[5:6]
	v_mul_f64 v[5:6], v[11:12], v[5:6]
	v_fma_f64 v[7:8], v[11:12], v[3:4], v[7:8]
	v_fma_f64 v[5:6], v[3:4], v[13:14], -v[5:6]
	v_mul_f64 v[3:4], v[7:8], s[0:1]
	v_mul_f64 v[5:6], v[5:6], s[0:1]
	global_store_dwordx4 v[15:16], v[3:6], off
	global_load_dwordx4 v[3:6], v19, s[12:13] offset:1920
	ds_read_b128 v[7:10], v2 offset:1920
	ds_read_b128 v[11:14], v2 offset:2112
	buffer_load_dword v21, off, s[60:63], 0 offset:36 ; 4-byte Folded Reload
	s_waitcnt vmcnt(1) lgkmcnt(1)
	v_mul_f64 v[17:18], v[9:10], v[5:6]
	v_mul_f64 v[5:6], v[7:8], v[5:6]
	v_fma_f64 v[7:8], v[7:8], v[3:4], v[17:18]
	v_fma_f64 v[5:6], v[3:4], v[9:10], -v[5:6]
	v_add_co_u32 v9, s8, s12, v19
	v_add_co_ci_u32_e64 v10, null, s13, 0, s8
	v_mul_f64 v[3:4], v[7:8], s[0:1]
	v_mul_f64 v[5:6], v[5:6], s[0:1]
	v_add_co_u32 v7, vcc_lo, v15, s3
	v_add_co_ci_u32_e32 v8, vcc_lo, s2, v16, vcc_lo
	v_add_co_u32 v15, vcc_lo, 0x800, v9
	v_add_co_ci_u32_e32 v16, vcc_lo, 0, v10, vcc_lo
	;; [unrolled: 2-line block ×3, first 2 shown]
	global_store_dwordx4 v[7:8], v[3:6], off
	global_load_dwordx4 v[3:6], v[15:16], off offset:64
	s_waitcnt vmcnt(1)
	v_lshlrev_b32_e32 v7, 4, v21
	s_waitcnt vmcnt(0) lgkmcnt(0)
	v_mul_f64 v[9:10], v[13:14], v[5:6]
	v_mul_f64 v[5:6], v[11:12], v[5:6]
	v_fma_f64 v[9:10], v[11:12], v[3:4], v[9:10]
	v_fma_f64 v[5:6], v[3:4], v[13:14], -v[5:6]
	v_mul_f64 v[3:4], v[9:10], s[0:1]
	v_mul_f64 v[5:6], v[5:6], s[0:1]
	global_store_dwordx4 v[17:18], v[3:6], off
	global_load_dwordx4 v[3:6], v7, s[12:13]
	ds_read_b128 v[7:10], v2 offset:2304
	ds_read_b128 v[11:14], v2 offset:2496
	s_waitcnt vmcnt(0) lgkmcnt(1)
	v_mul_f64 v[19:20], v[9:10], v[5:6]
	v_mul_f64 v[5:6], v[7:8], v[5:6]
	v_fma_f64 v[7:8], v[7:8], v[3:4], v[19:20]
	v_fma_f64 v[5:6], v[3:4], v[9:10], -v[5:6]
	v_mad_u64_u32 v[9:10], null, s4, v21, 0
	v_mov_b32_e32 v3, v10
	v_mad_u64_u32 v[19:20], null, s5, v21, v[3:4]
	v_mul_f64 v[3:4], v[7:8], s[0:1]
	v_mul_f64 v[5:6], v[5:6], s[0:1]
	v_mov_b32_e32 v10, v19
	v_lshlrev_b64 v[7:8], 4, v[9:10]
	v_add_co_u32 v7, vcc_lo, v0, v7
	v_add_co_ci_u32_e32 v8, vcc_lo, v1, v8, vcc_lo
	v_add_co_u32 v17, vcc_lo, v17, s7
	v_add_co_ci_u32_e32 v18, vcc_lo, s6, v18, vcc_lo
	global_store_dwordx4 v[7:8], v[3:6], off
	global_load_dwordx4 v[3:6], v[15:16], off offset:448
	s_waitcnt vmcnt(0) lgkmcnt(0)
	v_mul_f64 v[7:8], v[13:14], v[5:6]
	v_mul_f64 v[5:6], v[11:12], v[5:6]
	v_fma_f64 v[7:8], v[11:12], v[3:4], v[7:8]
	v_fma_f64 v[5:6], v[3:4], v[13:14], -v[5:6]
	v_mul_f64 v[3:4], v[7:8], s[0:1]
	v_mul_f64 v[5:6], v[5:6], s[0:1]
	global_store_dwordx4 v[17:18], v[3:6], off
	global_load_dwordx4 v[3:6], v[15:16], off offset:640
	ds_read_b128 v[7:10], v2 offset:2688
	ds_read_b128 v[11:14], v2 offset:2880
	s_waitcnt vmcnt(0) lgkmcnt(1)
	v_mul_f64 v[19:20], v[9:10], v[5:6]
	v_mul_f64 v[5:6], v[7:8], v[5:6]
	v_fma_f64 v[7:8], v[7:8], v[3:4], v[19:20]
	v_fma_f64 v[5:6], v[3:4], v[9:10], -v[5:6]
	v_mul_f64 v[3:4], v[7:8], s[0:1]
	v_mul_f64 v[5:6], v[5:6], s[0:1]
	v_add_co_u32 v7, vcc_lo, v17, s3
	v_add_co_ci_u32_e32 v8, vcc_lo, s2, v18, vcc_lo
	global_store_dwordx4 v[7:8], v[3:6], off
	global_load_dwordx4 v[3:6], v[15:16], off offset:832
	v_add_co_u32 v7, vcc_lo, v7, s3
	v_add_co_ci_u32_e32 v8, vcc_lo, s2, v8, vcc_lo
	s_waitcnt vmcnt(0) lgkmcnt(0)
	v_mul_f64 v[9:10], v[13:14], v[5:6]
	v_mul_f64 v[5:6], v[11:12], v[5:6]
	v_fma_f64 v[9:10], v[11:12], v[3:4], v[9:10]
	v_fma_f64 v[5:6], v[3:4], v[13:14], -v[5:6]
	v_mul_f64 v[3:4], v[9:10], s[0:1]
	v_mul_f64 v[5:6], v[5:6], s[0:1]
	v_lshlrev_b32_e32 v9, 4, v255
	global_store_dwordx4 v[7:8], v[3:6], off
	global_load_dwordx4 v[3:6], v9, s[12:13]
	ds_read_b128 v[7:10], v2 offset:3072
	s_waitcnt vmcnt(0) lgkmcnt(0)
	v_mul_f64 v[11:12], v[9:10], v[5:6]
	v_mul_f64 v[5:6], v[7:8], v[5:6]
	v_fma_f64 v[7:8], v[7:8], v[3:4], v[11:12]
	v_fma_f64 v[4:5], v[3:4], v[9:10], -v[5:6]
	v_mad_u64_u32 v[9:10], null, s4, v255, 0
	v_mov_b32_e32 v2, v10
	v_mad_u64_u32 v[10:11], null, s5, v255, v[2:3]
	v_mul_f64 v[2:3], v[7:8], s[0:1]
	v_mul_f64 v[4:5], v[4:5], s[0:1]
	v_lshlrev_b64 v[6:7], 4, v[9:10]
	v_add_co_u32 v0, vcc_lo, v0, v6
	v_add_co_ci_u32_e32 v1, vcc_lo, v1, v7, vcc_lo
	global_store_dwordx4 v[0:1], v[2:5], off
.LBB0_15:
	s_endpgm
	.section	.rodata,"a",@progbits
	.p2align	6, 0x0
	.amdhsa_kernel bluestein_single_back_len204_dim1_dp_op_CI_CI
		.amdhsa_group_segment_fixed_size 22848
		.amdhsa_private_segment_fixed_size 340
		.amdhsa_kernarg_size 104
		.amdhsa_user_sgpr_count 6
		.amdhsa_user_sgpr_private_segment_buffer 1
		.amdhsa_user_sgpr_dispatch_ptr 0
		.amdhsa_user_sgpr_queue_ptr 0
		.amdhsa_user_sgpr_kernarg_segment_ptr 1
		.amdhsa_user_sgpr_dispatch_id 0
		.amdhsa_user_sgpr_flat_scratch_init 0
		.amdhsa_user_sgpr_private_segment_size 0
		.amdhsa_wavefront_size32 1
		.amdhsa_uses_dynamic_stack 0
		.amdhsa_system_sgpr_private_segment_wavefront_offset 1
		.amdhsa_system_sgpr_workgroup_id_x 1
		.amdhsa_system_sgpr_workgroup_id_y 0
		.amdhsa_system_sgpr_workgroup_id_z 0
		.amdhsa_system_sgpr_workgroup_info 0
		.amdhsa_system_vgpr_workitem_id 0
		.amdhsa_next_free_vgpr 256
		.amdhsa_next_free_sgpr 64
		.amdhsa_reserve_vcc 1
		.amdhsa_reserve_flat_scratch 0
		.amdhsa_float_round_mode_32 0
		.amdhsa_float_round_mode_16_64 0
		.amdhsa_float_denorm_mode_32 3
		.amdhsa_float_denorm_mode_16_64 3
		.amdhsa_dx10_clamp 1
		.amdhsa_ieee_mode 1
		.amdhsa_fp16_overflow 0
		.amdhsa_workgroup_processor_mode 1
		.amdhsa_memory_ordered 1
		.amdhsa_forward_progress 0
		.amdhsa_shared_vgpr_count 0
		.amdhsa_exception_fp_ieee_invalid_op 0
		.amdhsa_exception_fp_denorm_src 0
		.amdhsa_exception_fp_ieee_div_zero 0
		.amdhsa_exception_fp_ieee_overflow 0
		.amdhsa_exception_fp_ieee_underflow 0
		.amdhsa_exception_fp_ieee_inexact 0
		.amdhsa_exception_int_div_zero 0
	.end_amdhsa_kernel
	.text
.Lfunc_end0:
	.size	bluestein_single_back_len204_dim1_dp_op_CI_CI, .Lfunc_end0-bluestein_single_back_len204_dim1_dp_op_CI_CI
                                        ; -- End function
	.section	.AMDGPU.csdata,"",@progbits
; Kernel info:
; codeLenInByte = 25056
; NumSgprs: 66
; NumVgprs: 256
; ScratchSize: 340
; MemoryBound: 0
; FloatMode: 240
; IeeeMode: 1
; LDSByteSize: 22848 bytes/workgroup (compile time only)
; SGPRBlocks: 8
; VGPRBlocks: 31
; NumSGPRsForWavesPerEU: 66
; NumVGPRsForWavesPerEU: 256
; Occupancy: 4
; WaveLimiterHint : 1
; COMPUTE_PGM_RSRC2:SCRATCH_EN: 1
; COMPUTE_PGM_RSRC2:USER_SGPR: 6
; COMPUTE_PGM_RSRC2:TRAP_HANDLER: 0
; COMPUTE_PGM_RSRC2:TGID_X_EN: 1
; COMPUTE_PGM_RSRC2:TGID_Y_EN: 0
; COMPUTE_PGM_RSRC2:TGID_Z_EN: 0
; COMPUTE_PGM_RSRC2:TIDIG_COMP_CNT: 0
	.text
	.p2alignl 6, 3214868480
	.fill 48, 4, 3214868480
	.type	__hip_cuid_e835371e5cfaede1,@object ; @__hip_cuid_e835371e5cfaede1
	.section	.bss,"aw",@nobits
	.globl	__hip_cuid_e835371e5cfaede1
__hip_cuid_e835371e5cfaede1:
	.byte	0                               ; 0x0
	.size	__hip_cuid_e835371e5cfaede1, 1

	.ident	"AMD clang version 19.0.0git (https://github.com/RadeonOpenCompute/llvm-project roc-6.4.0 25133 c7fe45cf4b819c5991fe208aaa96edf142730f1d)"
	.section	".note.GNU-stack","",@progbits
	.addrsig
	.addrsig_sym __hip_cuid_e835371e5cfaede1
	.amdgpu_metadata
---
amdhsa.kernels:
  - .args:
      - .actual_access:  read_only
        .address_space:  global
        .offset:         0
        .size:           8
        .value_kind:     global_buffer
      - .actual_access:  read_only
        .address_space:  global
        .offset:         8
        .size:           8
        .value_kind:     global_buffer
      - .actual_access:  read_only
        .address_space:  global
        .offset:         16
        .size:           8
        .value_kind:     global_buffer
      - .actual_access:  read_only
        .address_space:  global
        .offset:         24
        .size:           8
        .value_kind:     global_buffer
      - .actual_access:  read_only
        .address_space:  global
        .offset:         32
        .size:           8
        .value_kind:     global_buffer
      - .offset:         40
        .size:           8
        .value_kind:     by_value
      - .address_space:  global
        .offset:         48
        .size:           8
        .value_kind:     global_buffer
      - .address_space:  global
        .offset:         56
        .size:           8
        .value_kind:     global_buffer
      - .address_space:  global
        .offset:         64
        .size:           8
        .value_kind:     global_buffer
      - .address_space:  global
        .offset:         72
        .size:           8
        .value_kind:     global_buffer
      - .offset:         80
        .size:           4
        .value_kind:     by_value
      - .address_space:  global
        .offset:         88
        .size:           8
        .value_kind:     global_buffer
      - .address_space:  global
        .offset:         96
        .size:           8
        .value_kind:     global_buffer
    .group_segment_fixed_size: 22848
    .kernarg_segment_align: 8
    .kernarg_segment_size: 104
    .language:       OpenCL C
    .language_version:
      - 2
      - 0
    .max_flat_workgroup_size: 119
    .name:           bluestein_single_back_len204_dim1_dp_op_CI_CI
    .private_segment_fixed_size: 340
    .sgpr_count:     66
    .sgpr_spill_count: 0
    .symbol:         bluestein_single_back_len204_dim1_dp_op_CI_CI.kd
    .uniform_work_group_size: 1
    .uses_dynamic_stack: false
    .vgpr_count:     256
    .vgpr_spill_count: 122
    .wavefront_size: 32
    .workgroup_processor_mode: 1
amdhsa.target:   amdgcn-amd-amdhsa--gfx1030
amdhsa.version:
  - 1
  - 2
...

	.end_amdgpu_metadata
